;; amdgpu-corpus repo=zjin-lcf/HeCBench kind=compiled arch=gfx906 opt=O3
	.amdgcn_target "amdgcn-amd-amdhsa--gfx906"
	.amdhsa_code_object_version 6
	.text
	.protected	_Z11pnpoly_basePiPK15HIP_vector_typeIfLj2EES3_i ; -- Begin function _Z11pnpoly_basePiPK15HIP_vector_typeIfLj2EES3_i
	.globl	_Z11pnpoly_basePiPK15HIP_vector_typeIfLj2EES3_i
	.p2align	8
	.type	_Z11pnpoly_basePiPK15HIP_vector_typeIfLj2EES3_i,@function
_Z11pnpoly_basePiPK15HIP_vector_typeIfLj2EES3_i: ; @_Z11pnpoly_basePiPK15HIP_vector_typeIfLj2EES3_i
; %bb.0:
	s_load_dword s0, s[4:5], 0x2c
	s_load_dword s1, s[4:5], 0x18
	s_waitcnt lgkmcnt(0)
	s_and_b32 s0, s0, 0xffff
	s_mul_i32 s6, s6, s0
	v_add_u32_e32 v0, s6, v0
	v_cmp_gt_i32_e32 vcc, s1, v0
	s_and_saveexec_b64 s[0:1], vcc
	s_cbranch_execz .LBB0_16
; %bb.1:
	s_load_dwordx4 s[8:11], s[4:5], 0x0
	s_load_dwordx2 s[2:3], s[4:5], 0x10
	v_ashrrev_i32_e32 v1, 31, v0
	v_lshlrev_b64 v[2:3], 3, v[0:1]
	s_mov_b32 s5, 0
	s_waitcnt lgkmcnt(0)
	v_mov_b32_e32 v4, s11
	v_add_co_u32_e32 v2, vcc, s10, v2
	v_addc_co_u32_e32 v3, vcc, v4, v3, vcc
	global_load_dwordx2 v[2:3], v[2:3], off
	s_load_dword s12, s[2:3], 0x12bc
	s_movk_i32 s4, 0x257
	v_mov_b32_e32 v4, 0
	s_mov_b64 s[6:7], 0
	s_mov_b32 s14, s5
	s_branch .LBB0_4
.LBB0_2:                                ;   in Loop: Header=BB0_4 Depth=1
	s_or_b64 exec, exec, s[10:11]
.LBB0_3:                                ;   in Loop: Header=BB0_4 Depth=1
	s_or_b64 exec, exec, s[0:1]
	s_add_i32 s4, s14, 2
	s_add_i32 s14, s14, 3
	s_add_u32 s6, s6, 24
	s_addc_u32 s7, s7, 0
	s_cmpk_eq_i32 s6, 0x12c0
	s_cbranch_scc1 .LBB0_15
.LBB0_4:                                ; =>This Inner Loop Header: Depth=1
	s_add_u32 s10, s2, s6
	s_addc_u32 s11, s3, s7
	s_load_dword s15, s[10:11], 0x4
	s_waitcnt vmcnt(0) lgkmcnt(0)
	v_cmp_ngt_f32_e64 s[0:1], s12, v3
	v_cmp_gt_f32_e32 vcc, s15, v3
	s_xor_b64 s[0:1], vcc, s[0:1]
	s_xor_b64 s[16:17], s[0:1], -1
	s_and_saveexec_b64 s[0:1], s[16:17]
	s_cbranch_execz .LBB0_8
; %bb.5:                                ;   in Loop: Header=BB0_4 Depth=1
	s_lshl_b64 s[16:17], s[4:5], 3
	s_add_u32 s16, s2, s16
	s_addc_u32 s17, s3, s17
	s_load_dword s4, s[10:11], 0x0
	s_load_dword s13, s[16:17], 0x0
	v_mov_b32_e32 v5, s15
	v_sub_f32_e32 v5, s12, v5
	s_waitcnt lgkmcnt(0)
	v_mov_b32_e32 v6, s4
	v_sub_f32_e32 v6, s13, v6
	v_div_scale_f32 v7, s[12:13], v5, v5, v6
	v_div_scale_f32 v8, vcc, v6, v5, v6
	v_rcp_f32_e32 v9, v7
	v_fma_f32 v10, -v7, v9, 1.0
	v_fmac_f32_e32 v9, v10, v9
	v_mul_f32_e32 v10, v8, v9
	v_fma_f32 v11, -v7, v10, v8
	v_fmac_f32_e32 v10, v11, v9
	v_fma_f32 v7, -v7, v10, v8
	v_div_fmas_f32 v7, v7, v9, v10
	v_div_fixup_f32 v5, v7, v5, v6
	v_subrev_f32_e32 v6, s15, v3
	v_fma_f32 v5, v6, v5, s4
	v_cmp_lt_f32_e32 vcc, v2, v5
	s_and_saveexec_b64 s[12:13], vcc
; %bb.6:                                ;   in Loop: Header=BB0_4 Depth=1
	v_cmp_eq_u32_e32 vcc, 0, v4
	v_cndmask_b32_e64 v4, 0, 1, vcc
; %bb.7:                                ;   in Loop: Header=BB0_4 Depth=1
	s_or_b64 exec, exec, s[12:13]
.LBB0_8:                                ;   in Loop: Header=BB0_4 Depth=1
	s_or_b64 exec, exec, s[0:1]
	s_load_dword s4, s[10:11], 0xc
	v_cmp_ngt_f32_e64 s[0:1], s15, v3
	s_waitcnt lgkmcnt(0)
	v_cmp_gt_f32_e32 vcc, s4, v3
	s_xor_b64 s[0:1], vcc, s[0:1]
	s_xor_b64 s[12:13], s[0:1], -1
	s_and_saveexec_b64 s[0:1], s[12:13]
	s_cbranch_execz .LBB0_12
; %bb.9:                                ;   in Loop: Header=BB0_4 Depth=1
	s_load_dword s16, s[10:11], 0x8
	s_load_dword s12, s[10:11], 0x0
	v_mov_b32_e32 v5, s4
	v_sub_f32_e32 v5, s15, v5
	s_waitcnt lgkmcnt(0)
	v_mov_b32_e32 v6, s16
	v_sub_f32_e32 v6, s12, v6
	v_div_scale_f32 v7, s[12:13], v5, v5, v6
	v_div_scale_f32 v8, vcc, v6, v5, v6
	v_rcp_f32_e32 v9, v7
	v_fma_f32 v10, -v7, v9, 1.0
	v_fmac_f32_e32 v9, v10, v9
	v_mul_f32_e32 v10, v8, v9
	v_fma_f32 v11, -v7, v10, v8
	v_fmac_f32_e32 v10, v11, v9
	v_fma_f32 v7, -v7, v10, v8
	v_div_fmas_f32 v7, v7, v9, v10
	v_div_fixup_f32 v5, v7, v5, v6
	v_subrev_f32_e32 v6, s4, v3
	v_fma_f32 v5, v6, v5, s16
	v_cmp_lt_f32_e32 vcc, v2, v5
	s_and_saveexec_b64 s[12:13], vcc
; %bb.10:                               ;   in Loop: Header=BB0_4 Depth=1
	v_cmp_eq_u32_e32 vcc, 0, v4
	v_cndmask_b32_e64 v4, 0, 1, vcc
; %bb.11:                               ;   in Loop: Header=BB0_4 Depth=1
	s_or_b64 exec, exec, s[12:13]
.LBB0_12:                               ;   in Loop: Header=BB0_4 Depth=1
	s_or_b64 exec, exec, s[0:1]
	s_load_dword s12, s[10:11], 0x14
	v_cmp_ngt_f32_e64 s[0:1], s4, v3
	s_waitcnt lgkmcnt(0)
	v_cmp_gt_f32_e32 vcc, s12, v3
	s_xor_b64 s[0:1], vcc, s[0:1]
	s_xor_b64 s[16:17], s[0:1], -1
	s_and_saveexec_b64 s[0:1], s[16:17]
	s_cbranch_execz .LBB0_3
; %bb.13:                               ;   in Loop: Header=BB0_4 Depth=1
	s_load_dword s13, s[10:11], 0x10
	s_load_dword s15, s[10:11], 0x8
	v_mov_b32_e32 v5, s12
	v_sub_f32_e32 v5, s4, v5
	s_waitcnt lgkmcnt(0)
	v_mov_b32_e32 v6, s13
	v_sub_f32_e32 v6, s15, v6
	v_div_scale_f32 v7, s[10:11], v5, v5, v6
	v_div_scale_f32 v8, vcc, v6, v5, v6
	v_rcp_f32_e32 v9, v7
	v_fma_f32 v10, -v7, v9, 1.0
	v_fmac_f32_e32 v9, v10, v9
	v_mul_f32_e32 v10, v8, v9
	v_fma_f32 v11, -v7, v10, v8
	v_fmac_f32_e32 v10, v11, v9
	v_fma_f32 v7, -v7, v10, v8
	v_div_fmas_f32 v7, v7, v9, v10
	v_div_fixup_f32 v5, v7, v5, v6
	v_subrev_f32_e32 v6, s12, v3
	v_fma_f32 v5, v6, v5, s13
	v_cmp_lt_f32_e32 vcc, v2, v5
	s_and_saveexec_b64 s[10:11], vcc
	s_cbranch_execz .LBB0_2
; %bb.14:                               ;   in Loop: Header=BB0_4 Depth=1
	v_cmp_eq_u32_e32 vcc, 0, v4
	v_cndmask_b32_e64 v4, 0, 1, vcc
	s_branch .LBB0_2
.LBB0_15:
	v_lshlrev_b64 v[0:1], 2, v[0:1]
	v_mov_b32_e32 v2, s9
	v_add_co_u32_e32 v0, vcc, s8, v0
	v_addc_co_u32_e32 v1, vcc, v2, v1, vcc
	global_store_dword v[0:1], v4, off
.LBB0_16:
	s_endpgm
	.section	.rodata,"a",@progbits
	.p2align	6, 0x0
	.amdhsa_kernel _Z11pnpoly_basePiPK15HIP_vector_typeIfLj2EES3_i
		.amdhsa_group_segment_fixed_size 0
		.amdhsa_private_segment_fixed_size 0
		.amdhsa_kernarg_size 288
		.amdhsa_user_sgpr_count 6
		.amdhsa_user_sgpr_private_segment_buffer 1
		.amdhsa_user_sgpr_dispatch_ptr 0
		.amdhsa_user_sgpr_queue_ptr 0
		.amdhsa_user_sgpr_kernarg_segment_ptr 1
		.amdhsa_user_sgpr_dispatch_id 0
		.amdhsa_user_sgpr_flat_scratch_init 0
		.amdhsa_user_sgpr_private_segment_size 0
		.amdhsa_uses_dynamic_stack 0
		.amdhsa_system_sgpr_private_segment_wavefront_offset 0
		.amdhsa_system_sgpr_workgroup_id_x 1
		.amdhsa_system_sgpr_workgroup_id_y 0
		.amdhsa_system_sgpr_workgroup_id_z 0
		.amdhsa_system_sgpr_workgroup_info 0
		.amdhsa_system_vgpr_workitem_id 0
		.amdhsa_next_free_vgpr 12
		.amdhsa_next_free_sgpr 18
		.amdhsa_reserve_vcc 1
		.amdhsa_reserve_flat_scratch 0
		.amdhsa_float_round_mode_32 0
		.amdhsa_float_round_mode_16_64 0
		.amdhsa_float_denorm_mode_32 3
		.amdhsa_float_denorm_mode_16_64 3
		.amdhsa_dx10_clamp 1
		.amdhsa_ieee_mode 1
		.amdhsa_fp16_overflow 0
		.amdhsa_exception_fp_ieee_invalid_op 0
		.amdhsa_exception_fp_denorm_src 0
		.amdhsa_exception_fp_ieee_div_zero 0
		.amdhsa_exception_fp_ieee_overflow 0
		.amdhsa_exception_fp_ieee_underflow 0
		.amdhsa_exception_fp_ieee_inexact 0
		.amdhsa_exception_int_div_zero 0
	.end_amdhsa_kernel
	.text
.Lfunc_end0:
	.size	_Z11pnpoly_basePiPK15HIP_vector_typeIfLj2EES3_i, .Lfunc_end0-_Z11pnpoly_basePiPK15HIP_vector_typeIfLj2EES3_i
                                        ; -- End function
	.set _Z11pnpoly_basePiPK15HIP_vector_typeIfLj2EES3_i.num_vgpr, 12
	.set _Z11pnpoly_basePiPK15HIP_vector_typeIfLj2EES3_i.num_agpr, 0
	.set _Z11pnpoly_basePiPK15HIP_vector_typeIfLj2EES3_i.numbered_sgpr, 18
	.set _Z11pnpoly_basePiPK15HIP_vector_typeIfLj2EES3_i.num_named_barrier, 0
	.set _Z11pnpoly_basePiPK15HIP_vector_typeIfLj2EES3_i.private_seg_size, 0
	.set _Z11pnpoly_basePiPK15HIP_vector_typeIfLj2EES3_i.uses_vcc, 1
	.set _Z11pnpoly_basePiPK15HIP_vector_typeIfLj2EES3_i.uses_flat_scratch, 0
	.set _Z11pnpoly_basePiPK15HIP_vector_typeIfLj2EES3_i.has_dyn_sized_stack, 0
	.set _Z11pnpoly_basePiPK15HIP_vector_typeIfLj2EES3_i.has_recursion, 0
	.set _Z11pnpoly_basePiPK15HIP_vector_typeIfLj2EES3_i.has_indirect_call, 0
	.section	.AMDGPU.csdata,"",@progbits
; Kernel info:
; codeLenInByte = 780
; TotalNumSgprs: 22
; NumVgprs: 12
; ScratchSize: 0
; MemoryBound: 0
; FloatMode: 240
; IeeeMode: 1
; LDSByteSize: 0 bytes/workgroup (compile time only)
; SGPRBlocks: 2
; VGPRBlocks: 2
; NumSGPRsForWavesPerEU: 22
; NumVGPRsForWavesPerEU: 12
; Occupancy: 10
; WaveLimiterHint : 0
; COMPUTE_PGM_RSRC2:SCRATCH_EN: 0
; COMPUTE_PGM_RSRC2:USER_SGPR: 6
; COMPUTE_PGM_RSRC2:TRAP_HANDLER: 0
; COMPUTE_PGM_RSRC2:TGID_X_EN: 1
; COMPUTE_PGM_RSRC2:TGID_Y_EN: 0
; COMPUTE_PGM_RSRC2:TGID_Z_EN: 0
; COMPUTE_PGM_RSRC2:TIDIG_COMP_CNT: 0
	.section	.text._Z10pnpoly_optILi1EEvPiPK15HIP_vector_typeIfLj2EES4_i,"axG",@progbits,_Z10pnpoly_optILi1EEvPiPK15HIP_vector_typeIfLj2EES4_i,comdat
	.protected	_Z10pnpoly_optILi1EEvPiPK15HIP_vector_typeIfLj2EES4_i ; -- Begin function _Z10pnpoly_optILi1EEvPiPK15HIP_vector_typeIfLj2EES4_i
	.globl	_Z10pnpoly_optILi1EEvPiPK15HIP_vector_typeIfLj2EES4_i
	.p2align	8
	.type	_Z10pnpoly_optILi1EEvPiPK15HIP_vector_typeIfLj2EES4_i,@function
_Z10pnpoly_optILi1EEvPiPK15HIP_vector_typeIfLj2EES4_i: ; @_Z10pnpoly_optILi1EEvPiPK15HIP_vector_typeIfLj2EES4_i
; %bb.0:
	s_load_dword s0, s[4:5], 0x18
	v_lshl_add_u32 v0, s6, 8, v0
	s_waitcnt lgkmcnt(0)
	v_cmp_gt_i32_e32 vcc, s0, v0
	s_and_saveexec_b64 s[0:1], vcc
	s_cbranch_execz .LBB1_4
; %bb.1:
	s_load_dwordx4 s[20:23], s[4:5], 0x0
	s_load_dwordx2 s[10:11], s[4:5], 0x10
	v_ashrrev_i32_e32 v1, 31, v0
	v_lshlrev_b64 v[2:3], 3, v[0:1]
	s_waitcnt lgkmcnt(0)
	v_mov_b32_e32 v4, s23
	v_add_co_u32_e32 v2, vcc, s22, v2
	v_addc_co_u32_e32 v3, vcc, v4, v3, vcc
	global_load_dwordx2 v[2:3], v[2:3], off
	s_load_dwordx2 s[4:5], s[10:11], 0x12b8
	v_mov_b32_e32 v4, 0
	s_mov_b64 s[22:23], 0
.LBB1_2:                                ; =>This Inner Loop Header: Depth=1
	s_add_u32 s2, s10, s22
	s_addc_u32 s3, s11, s23
	s_load_dwordx8 s[12:19], s[2:3], 0x0
	s_load_dwordx2 s[24:25], s[2:3], 0x20
	s_waitcnt lgkmcnt(0)
	v_mov_b32_e32 v5, s12
	v_mov_b32_e32 v6, s13
	v_sub_f32_e32 v5, s4, v5
	v_sub_f32_e32 v6, s5, v6
	v_div_scale_f32 v13, s[0:1], v6, v6, v5
	v_mov_b32_e32 v7, s14
	v_mov_b32_e32 v8, s15
	v_div_scale_f32 v14, vcc, v5, v6, v5
	v_mov_b32_e32 v9, s16
	v_mov_b32_e32 v10, s17
	v_sub_f32_e32 v7, s12, v7
	v_sub_f32_e32 v8, s13, v8
	v_mov_b32_e32 v11, s18
	v_mov_b32_e32 v12, s19
	v_sub_f32_e32 v9, s14, v9
	v_sub_f32_e32 v10, s15, v10
	v_div_scale_f32 v15, s[0:1], v8, v8, v7
	v_sub_f32_e32 v11, s16, v11
	v_sub_f32_e32 v12, s17, v12
	v_div_scale_f32 v16, s[0:1], v10, v10, v9
	v_div_scale_f32 v17, s[0:1], v12, v12, v11
	;; [unrolled: 1-line block ×3, first 2 shown]
	v_rcp_f32_e32 v19, v13
	s_waitcnt vmcnt(0)
	v_cmp_gt_f32_e64 s[6:7], s19, v3
	v_cmp_gt_f32_e64 s[8:9], s25, v3
	v_fma_f32 v20, -v13, v19, 1.0
	v_fmac_f32_e32 v19, v20, v19
	v_mul_f32_e32 v20, v14, v19
	v_fma_f32 v21, -v13, v20, v14
	v_fmac_f32_e32 v20, v21, v19
	v_rcp_f32_e32 v21, v15
	v_fma_f32 v13, -v13, v20, v14
	v_rcp_f32_e32 v14, v16
	v_div_fmas_f32 v13, v13, v19, v20
	v_rcp_f32_e32 v19, v17
	v_fma_f32 v20, -v15, v21, 1.0
	v_fmac_f32_e32 v21, v20, v21
	v_fma_f32 v20, -v16, v14, 1.0
	v_fmac_f32_e32 v14, v20, v14
	;; [unrolled: 2-line block ×3, first 2 shown]
	v_mul_f32_e32 v20, v18, v21
	v_fma_f32 v22, -v15, v20, v18
	v_fmac_f32_e32 v20, v22, v21
	v_fma_f32 v15, -v15, v20, v18
	v_div_scale_f32 v18, s[2:3], v9, v10, v9
	s_mov_b64 vcc, s[0:1]
	v_div_fmas_f32 v15, v15, v21, v20
	s_mov_b64 vcc, s[2:3]
	v_div_fixup_f32 v5, v13, v6, v5
	v_subrev_f32_e32 v6, s17, v3
	v_subrev_f32_e32 v13, s19, v3
	v_mul_f32_e32 v20, v18, v14
	v_fma_f32 v21, -v16, v20, v18
	v_fmac_f32_e32 v20, v21, v14
	v_fma_f32 v16, -v16, v20, v18
	v_div_scale_f32 v18, s[0:1], v11, v12, v11
	v_div_fmas_f32 v14, v16, v14, v20
	v_mov_b32_e32 v21, s24
	v_sub_f32_e32 v21, s18, v21
	s_mov_b64 vcc, s[0:1]
	v_cmp_gt_f32_e64 s[0:1], s5, v3
	v_cmp_gt_f32_e64 s[4:5], s17, v3
	v_div_fixup_f32 v7, v15, v8, v7
	s_xor_b64 s[26:27], s[6:7], s[4:5]
	s_xor_b64 s[6:7], s[8:9], s[6:7]
	v_mul_f32_e32 v16, v18, v19
	v_fma_f32 v20, -v17, v16, v18
	v_fmac_f32_e32 v16, v20, v19
	v_mov_b32_e32 v20, s25
	v_sub_f32_e32 v20, s19, v20
	v_fma_f32 v17, -v17, v16, v18
	v_div_scale_f32 v18, s[2:3], v20, v20, v21
	v_div_fmas_f32 v16, v17, v19, v16
	v_cmp_gt_f32_e64 s[2:3], s13, v3
	s_xor_b64 s[0:1], s[2:3], s[0:1]
	v_rcp_f32_e32 v17, v18
	v_fma_f32 v19, -v18, v17, 1.0
	v_fmac_f32_e32 v17, v19, v17
	v_div_scale_f32 v19, vcc, v21, v20, v21
	v_mul_f32_e32 v22, v19, v17
	v_fma_f32 v23, -v18, v22, v19
	v_fmac_f32_e32 v22, v23, v17
	v_fma_f32 v18, -v18, v22, v19
	v_div_fmas_f32 v17, v18, v17, v22
	v_subrev_f32_e32 v18, s13, v3
	v_cmp_gt_f32_e32 vcc, s15, v3
	v_subrev_f32_e32 v19, s15, v3
	v_fma_f32 v5, v18, v5, s12
	s_xor_b64 s[2:3], vcc, s[2:3]
	s_xor_b64 s[12:13], s[4:5], vcc
	v_cmp_lt_f32_e32 vcc, v2, v5
	v_fma_f32 v5, v19, v7, s14
	v_div_fixup_f32 v7, v14, v10, v9
	s_and_b64 s[0:1], s[0:1], vcc
	v_cmp_lt_f32_e32 vcc, v2, v5
	v_fma_f32 v5, v6, v7, s16
	v_div_fixup_f32 v6, v16, v12, v11
	v_subrev_f32_e32 v18, s25, v3
	v_cndmask_b32_e64 v8, 0, 1, s[0:1]
	s_and_b64 s[0:1], s[2:3], vcc
	v_cmp_lt_f32_e32 vcc, v2, v5
	v_fma_f32 v5, v13, v6, s18
	v_div_fixup_f32 v6, v17, v20, v21
	v_xor_b32_e32 v4, v4, v8
	v_cndmask_b32_e64 v7, 0, 1, s[0:1]
	s_and_b64 s[0:1], s[12:13], vcc
	v_cmp_lt_f32_e32 vcc, v2, v5
	v_fma_f32 v5, v18, v6, s24
	v_xor_b32_e32 v4, v4, v7
	v_cndmask_b32_e64 v7, 0, 1, s[0:1]
	s_and_b64 s[0:1], s[26:27], vcc
	v_cmp_lt_f32_e32 vcc, v2, v5
	v_cndmask_b32_e64 v6, 0, 1, s[0:1]
	s_and_b64 s[0:1], s[6:7], vcc
	v_xor_b32_e32 v4, v4, v7
	s_add_u32 s22, s22, 40
	v_xor_b32_e32 v4, v4, v6
	v_cndmask_b32_e64 v5, 0, 1, s[0:1]
	s_addc_u32 s23, s23, 0
	s_mov_b32 s5, s25
	s_mov_b32 s4, s24
	s_cmpk_eq_i32 s22, 0x12c0
	v_xor_b32_e32 v4, v4, v5
	s_cbranch_scc0 .LBB1_2
; %bb.3:
	v_lshlrev_b64 v[0:1], 2, v[0:1]
	v_mov_b32_e32 v2, s21
	v_add_co_u32_e32 v0, vcc, s20, v0
	v_addc_co_u32_e32 v1, vcc, v2, v1, vcc
	global_store_dword v[0:1], v4, off
.LBB1_4:
	s_endpgm
	.section	.rodata,"a",@progbits
	.p2align	6, 0x0
	.amdhsa_kernel _Z10pnpoly_optILi1EEvPiPK15HIP_vector_typeIfLj2EES4_i
		.amdhsa_group_segment_fixed_size 0
		.amdhsa_private_segment_fixed_size 0
		.amdhsa_kernarg_size 28
		.amdhsa_user_sgpr_count 6
		.amdhsa_user_sgpr_private_segment_buffer 1
		.amdhsa_user_sgpr_dispatch_ptr 0
		.amdhsa_user_sgpr_queue_ptr 0
		.amdhsa_user_sgpr_kernarg_segment_ptr 1
		.amdhsa_user_sgpr_dispatch_id 0
		.amdhsa_user_sgpr_flat_scratch_init 0
		.amdhsa_user_sgpr_private_segment_size 0
		.amdhsa_uses_dynamic_stack 0
		.amdhsa_system_sgpr_private_segment_wavefront_offset 0
		.amdhsa_system_sgpr_workgroup_id_x 1
		.amdhsa_system_sgpr_workgroup_id_y 0
		.amdhsa_system_sgpr_workgroup_id_z 0
		.amdhsa_system_sgpr_workgroup_info 0
		.amdhsa_system_vgpr_workitem_id 0
		.amdhsa_next_free_vgpr 24
		.amdhsa_next_free_sgpr 28
		.amdhsa_reserve_vcc 1
		.amdhsa_reserve_flat_scratch 0
		.amdhsa_float_round_mode_32 0
		.amdhsa_float_round_mode_16_64 0
		.amdhsa_float_denorm_mode_32 3
		.amdhsa_float_denorm_mode_16_64 3
		.amdhsa_dx10_clamp 1
		.amdhsa_ieee_mode 1
		.amdhsa_fp16_overflow 0
		.amdhsa_exception_fp_ieee_invalid_op 0
		.amdhsa_exception_fp_denorm_src 0
		.amdhsa_exception_fp_ieee_div_zero 0
		.amdhsa_exception_fp_ieee_overflow 0
		.amdhsa_exception_fp_ieee_underflow 0
		.amdhsa_exception_fp_ieee_inexact 0
		.amdhsa_exception_int_div_zero 0
	.end_amdhsa_kernel
	.section	.text._Z10pnpoly_optILi1EEvPiPK15HIP_vector_typeIfLj2EES4_i,"axG",@progbits,_Z10pnpoly_optILi1EEvPiPK15HIP_vector_typeIfLj2EES4_i,comdat
.Lfunc_end1:
	.size	_Z10pnpoly_optILi1EEvPiPK15HIP_vector_typeIfLj2EES4_i, .Lfunc_end1-_Z10pnpoly_optILi1EEvPiPK15HIP_vector_typeIfLj2EES4_i
                                        ; -- End function
	.set _Z10pnpoly_optILi1EEvPiPK15HIP_vector_typeIfLj2EES4_i.num_vgpr, 24
	.set _Z10pnpoly_optILi1EEvPiPK15HIP_vector_typeIfLj2EES4_i.num_agpr, 0
	.set _Z10pnpoly_optILi1EEvPiPK15HIP_vector_typeIfLj2EES4_i.numbered_sgpr, 28
	.set _Z10pnpoly_optILi1EEvPiPK15HIP_vector_typeIfLj2EES4_i.num_named_barrier, 0
	.set _Z10pnpoly_optILi1EEvPiPK15HIP_vector_typeIfLj2EES4_i.private_seg_size, 0
	.set _Z10pnpoly_optILi1EEvPiPK15HIP_vector_typeIfLj2EES4_i.uses_vcc, 1
	.set _Z10pnpoly_optILi1EEvPiPK15HIP_vector_typeIfLj2EES4_i.uses_flat_scratch, 0
	.set _Z10pnpoly_optILi1EEvPiPK15HIP_vector_typeIfLj2EES4_i.has_dyn_sized_stack, 0
	.set _Z10pnpoly_optILi1EEvPiPK15HIP_vector_typeIfLj2EES4_i.has_recursion, 0
	.set _Z10pnpoly_optILi1EEvPiPK15HIP_vector_typeIfLj2EES4_i.has_indirect_call, 0
	.section	.AMDGPU.csdata,"",@progbits
; Kernel info:
; codeLenInByte = 864
; TotalNumSgprs: 32
; NumVgprs: 24
; ScratchSize: 0
; MemoryBound: 0
; FloatMode: 240
; IeeeMode: 1
; LDSByteSize: 0 bytes/workgroup (compile time only)
; SGPRBlocks: 3
; VGPRBlocks: 5
; NumSGPRsForWavesPerEU: 32
; NumVGPRsForWavesPerEU: 24
; Occupancy: 10
; WaveLimiterHint : 0
; COMPUTE_PGM_RSRC2:SCRATCH_EN: 0
; COMPUTE_PGM_RSRC2:USER_SGPR: 6
; COMPUTE_PGM_RSRC2:TRAP_HANDLER: 0
; COMPUTE_PGM_RSRC2:TGID_X_EN: 1
; COMPUTE_PGM_RSRC2:TGID_Y_EN: 0
; COMPUTE_PGM_RSRC2:TGID_Z_EN: 0
; COMPUTE_PGM_RSRC2:TIDIG_COMP_CNT: 0
	.section	.text._Z10pnpoly_optILi2EEvPiPK15HIP_vector_typeIfLj2EES4_i,"axG",@progbits,_Z10pnpoly_optILi2EEvPiPK15HIP_vector_typeIfLj2EES4_i,comdat
	.protected	_Z10pnpoly_optILi2EEvPiPK15HIP_vector_typeIfLj2EES4_i ; -- Begin function _Z10pnpoly_optILi2EEvPiPK15HIP_vector_typeIfLj2EES4_i
	.globl	_Z10pnpoly_optILi2EEvPiPK15HIP_vector_typeIfLj2EES4_i
	.p2align	8
	.type	_Z10pnpoly_optILi2EEvPiPK15HIP_vector_typeIfLj2EES4_i,@function
_Z10pnpoly_optILi2EEvPiPK15HIP_vector_typeIfLj2EES4_i: ; @_Z10pnpoly_optILi2EEvPiPK15HIP_vector_typeIfLj2EES4_i
; %bb.0:
	s_load_dword s0, s[4:5], 0x18
	v_lshl_add_u32 v0, s6, 9, v0
	s_waitcnt lgkmcnt(0)
	v_cmp_gt_i32_e32 vcc, s0, v0
	s_and_saveexec_b64 s[2:3], vcc
	s_cbranch_execz .LBB2_23
; %bb.1:
	s_load_dwordx4 s[8:11], s[4:5], 0x0
	s_load_dwordx2 s[6:7], s[4:5], 0x10
	v_ashrrev_i32_e32 v1, 31, v0
	v_lshlrev_b64 v[2:3], 3, v[0:1]
	s_waitcnt lgkmcnt(0)
	v_mov_b32_e32 v4, s11
	v_add_co_u32_e32 v6, vcc, s10, v2
	v_addc_co_u32_e32 v7, vcc, v4, v3, vcc
	global_load_dwordx2 v[2:3], v[6:7], off
	v_add_u32_e32 v4, 0x100, v0
	v_cmp_gt_i32_e64 s[0:1], s0, v4
                                        ; implicit-def: $vgpr5
	s_and_saveexec_b64 s[2:3], s[0:1]
	s_cbranch_execz .LBB2_3
; %bb.2:
	global_load_dwordx2 v[4:5], v[6:7], off offset:2048
.LBB2_3:
	s_or_b64 exec, exec, s[2:3]
	s_load_dwordx2 s[10:11], s[6:7], 0x12b8
	v_mov_b32_e32 v7, 0
	v_mov_b32_e32 v6, v7
	s_mov_b64 s[4:5], 0
	s_branch .LBB2_6
.LBB2_4:                                ;   in Loop: Header=BB2_6 Depth=1
	s_or_b64 exec, exec, s[12:13]
.LBB2_5:                                ;   in Loop: Header=BB2_6 Depth=1
	s_or_b64 exec, exec, s[2:3]
	s_add_u32 s4, s4, 16
	s_addc_u32 s5, s5, 0
	s_cmpk_lg_i32 s4, 0x12c0
	s_cbranch_scc0 .LBB2_21
.LBB2_6:                                ; =>This Inner Loop Header: Depth=1
	s_add_u32 s14, s6, s4
	s_addc_u32 s15, s7, s5
	s_load_dwordx2 s[12:13], s[14:15], 0x0
	s_waitcnt lgkmcnt(0)
	v_mov_b32_e32 v8, s12
	v_mov_b32_e32 v9, s13
	v_sub_f32_e32 v8, s10, v8
	v_sub_f32_e32 v9, s11, v9
	v_div_scale_f32 v10, s[2:3], v9, v9, v8
	v_div_scale_f32 v11, vcc, v8, v9, v8
	s_waitcnt vmcnt(0)
	v_cmp_gt_f32_e64 s[2:3], s13, v3
	v_rcp_f32_e32 v12, v10
	v_fma_f32 v13, -v10, v12, 1.0
	v_fmac_f32_e32 v12, v13, v12
	v_mul_f32_e32 v13, v11, v12
	v_fma_f32 v14, -v10, v13, v11
	v_fmac_f32_e32 v13, v14, v12
	v_fma_f32 v10, -v10, v13, v11
	v_div_fmas_f32 v10, v10, v12, v13
	v_cmp_ngt_f32_e32 vcc, s11, v3
	s_xor_b64 s[2:3], s[2:3], vcc
	s_xor_b64 s[16:17], s[2:3], -1
	v_div_fixup_f32 v8, v10, v9, v8
	s_and_saveexec_b64 s[2:3], s[16:17]
	s_cbranch_execz .LBB2_10
; %bb.7:                                ;   in Loop: Header=BB2_6 Depth=1
	v_subrev_f32_e32 v9, s13, v3
	v_fma_f32 v9, v8, v9, s12
	v_cmp_lt_f32_e32 vcc, v2, v9
	s_and_saveexec_b64 s[16:17], vcc
; %bb.8:                                ;   in Loop: Header=BB2_6 Depth=1
	v_cmp_eq_u32_e32 vcc, 0, v7
	v_cndmask_b32_e64 v7, 0, 1, vcc
; %bb.9:                                ;   in Loop: Header=BB2_6 Depth=1
	s_or_b64 exec, exec, s[16:17]
.LBB2_10:                               ;   in Loop: Header=BB2_6 Depth=1
	s_or_b64 exec, exec, s[2:3]
	v_cmp_gt_f32_e32 vcc, s13, v5
	v_cmp_ngt_f32_e64 s[2:3], s11, v5
	s_xor_b64 s[2:3], vcc, s[2:3]
	s_xor_b64 s[10:11], s[2:3], -1
	s_and_saveexec_b64 s[2:3], s[10:11]
	s_cbranch_execz .LBB2_14
; %bb.11:                               ;   in Loop: Header=BB2_6 Depth=1
	v_subrev_f32_e32 v9, s13, v5
	v_fma_f32 v8, v8, v9, s12
	v_cmp_lt_f32_e32 vcc, v4, v8
	s_and_saveexec_b64 s[10:11], vcc
; %bb.12:                               ;   in Loop: Header=BB2_6 Depth=1
	v_cmp_eq_u32_e32 vcc, 0, v6
	v_cndmask_b32_e64 v6, 0, 1, vcc
; %bb.13:                               ;   in Loop: Header=BB2_6 Depth=1
	s_or_b64 exec, exec, s[10:11]
.LBB2_14:                               ;   in Loop: Header=BB2_6 Depth=1
	s_or_b64 exec, exec, s[2:3]
	s_load_dwordx2 s[10:11], s[14:15], 0x8
	s_waitcnt lgkmcnt(0)
	v_mov_b32_e32 v8, s10
	v_mov_b32_e32 v9, s11
	v_sub_f32_e32 v8, s12, v8
	v_sub_f32_e32 v9, s13, v9
	v_div_scale_f32 v10, s[2:3], v9, v9, v8
	v_div_scale_f32 v11, vcc, v8, v9, v8
	v_cmp_gt_f32_e64 s[2:3], s11, v3
	v_rcp_f32_e32 v12, v10
	v_fma_f32 v13, -v10, v12, 1.0
	v_fmac_f32_e32 v12, v13, v12
	v_mul_f32_e32 v13, v11, v12
	v_fma_f32 v14, -v10, v13, v11
	v_fmac_f32_e32 v13, v14, v12
	v_fma_f32 v10, -v10, v13, v11
	v_div_fmas_f32 v10, v10, v12, v13
	v_cmp_ngt_f32_e32 vcc, s13, v3
	s_xor_b64 s[2:3], s[2:3], vcc
	s_xor_b64 s[14:15], s[2:3], -1
	v_div_fixup_f32 v8, v10, v9, v8
	s_and_saveexec_b64 s[2:3], s[14:15]
	s_cbranch_execz .LBB2_18
; %bb.15:                               ;   in Loop: Header=BB2_6 Depth=1
	v_subrev_f32_e32 v9, s11, v3
	v_fma_f32 v9, v8, v9, s10
	v_cmp_lt_f32_e32 vcc, v2, v9
	s_and_saveexec_b64 s[14:15], vcc
; %bb.16:                               ;   in Loop: Header=BB2_6 Depth=1
	v_cmp_eq_u32_e32 vcc, 0, v7
	v_cndmask_b32_e64 v7, 0, 1, vcc
; %bb.17:                               ;   in Loop: Header=BB2_6 Depth=1
	s_or_b64 exec, exec, s[14:15]
.LBB2_18:                               ;   in Loop: Header=BB2_6 Depth=1
	s_or_b64 exec, exec, s[2:3]
	v_cmp_gt_f32_e32 vcc, s11, v5
	v_cmp_ngt_f32_e64 s[2:3], s13, v5
	s_xor_b64 s[2:3], vcc, s[2:3]
	s_xor_b64 s[12:13], s[2:3], -1
	s_and_saveexec_b64 s[2:3], s[12:13]
	s_cbranch_execz .LBB2_5
; %bb.19:                               ;   in Loop: Header=BB2_6 Depth=1
	v_subrev_f32_e32 v9, s11, v5
	v_fma_f32 v8, v8, v9, s10
	v_cmp_lt_f32_e32 vcc, v4, v8
	s_and_saveexec_b64 s[12:13], vcc
	s_cbranch_execz .LBB2_4
; %bb.20:                               ;   in Loop: Header=BB2_6 Depth=1
	v_cmp_eq_u32_e32 vcc, 0, v6
	v_cndmask_b32_e64 v6, 0, 1, vcc
	s_branch .LBB2_4
.LBB2_21:
	v_lshlrev_b64 v[0:1], 2, v[0:1]
	v_mov_b32_e32 v2, s9
	v_add_co_u32_e32 v0, vcc, s8, v0
	v_addc_co_u32_e32 v1, vcc, v2, v1, vcc
	global_store_dword v[0:1], v7, off
	s_and_b64 exec, exec, s[0:1]
	s_cbranch_execz .LBB2_23
; %bb.22:
	global_store_dword v[0:1], v6, off offset:1024
.LBB2_23:
	s_endpgm
	.section	.rodata,"a",@progbits
	.p2align	6, 0x0
	.amdhsa_kernel _Z10pnpoly_optILi2EEvPiPK15HIP_vector_typeIfLj2EES4_i
		.amdhsa_group_segment_fixed_size 0
		.amdhsa_private_segment_fixed_size 0
		.amdhsa_kernarg_size 28
		.amdhsa_user_sgpr_count 6
		.amdhsa_user_sgpr_private_segment_buffer 1
		.amdhsa_user_sgpr_dispatch_ptr 0
		.amdhsa_user_sgpr_queue_ptr 0
		.amdhsa_user_sgpr_kernarg_segment_ptr 1
		.amdhsa_user_sgpr_dispatch_id 0
		.amdhsa_user_sgpr_flat_scratch_init 0
		.amdhsa_user_sgpr_private_segment_size 0
		.amdhsa_uses_dynamic_stack 0
		.amdhsa_system_sgpr_private_segment_wavefront_offset 0
		.amdhsa_system_sgpr_workgroup_id_x 1
		.amdhsa_system_sgpr_workgroup_id_y 0
		.amdhsa_system_sgpr_workgroup_id_z 0
		.amdhsa_system_sgpr_workgroup_info 0
		.amdhsa_system_vgpr_workitem_id 0
		.amdhsa_next_free_vgpr 15
		.amdhsa_next_free_sgpr 18
		.amdhsa_reserve_vcc 1
		.amdhsa_reserve_flat_scratch 0
		.amdhsa_float_round_mode_32 0
		.amdhsa_float_round_mode_16_64 0
		.amdhsa_float_denorm_mode_32 3
		.amdhsa_float_denorm_mode_16_64 3
		.amdhsa_dx10_clamp 1
		.amdhsa_ieee_mode 1
		.amdhsa_fp16_overflow 0
		.amdhsa_exception_fp_ieee_invalid_op 0
		.amdhsa_exception_fp_denorm_src 0
		.amdhsa_exception_fp_ieee_div_zero 0
		.amdhsa_exception_fp_ieee_overflow 0
		.amdhsa_exception_fp_ieee_underflow 0
		.amdhsa_exception_fp_ieee_inexact 0
		.amdhsa_exception_int_div_zero 0
	.end_amdhsa_kernel
	.section	.text._Z10pnpoly_optILi2EEvPiPK15HIP_vector_typeIfLj2EES4_i,"axG",@progbits,_Z10pnpoly_optILi2EEvPiPK15HIP_vector_typeIfLj2EES4_i,comdat
.Lfunc_end2:
	.size	_Z10pnpoly_optILi2EEvPiPK15HIP_vector_typeIfLj2EES4_i, .Lfunc_end2-_Z10pnpoly_optILi2EEvPiPK15HIP_vector_typeIfLj2EES4_i
                                        ; -- End function
	.set _Z10pnpoly_optILi2EEvPiPK15HIP_vector_typeIfLj2EES4_i.num_vgpr, 15
	.set _Z10pnpoly_optILi2EEvPiPK15HIP_vector_typeIfLj2EES4_i.num_agpr, 0
	.set _Z10pnpoly_optILi2EEvPiPK15HIP_vector_typeIfLj2EES4_i.numbered_sgpr, 18
	.set _Z10pnpoly_optILi2EEvPiPK15HIP_vector_typeIfLj2EES4_i.num_named_barrier, 0
	.set _Z10pnpoly_optILi2EEvPiPK15HIP_vector_typeIfLj2EES4_i.private_seg_size, 0
	.set _Z10pnpoly_optILi2EEvPiPK15HIP_vector_typeIfLj2EES4_i.uses_vcc, 1
	.set _Z10pnpoly_optILi2EEvPiPK15HIP_vector_typeIfLj2EES4_i.uses_flat_scratch, 0
	.set _Z10pnpoly_optILi2EEvPiPK15HIP_vector_typeIfLj2EES4_i.has_dyn_sized_stack, 0
	.set _Z10pnpoly_optILi2EEvPiPK15HIP_vector_typeIfLj2EES4_i.has_recursion, 0
	.set _Z10pnpoly_optILi2EEvPiPK15HIP_vector_typeIfLj2EES4_i.has_indirect_call, 0
	.section	.AMDGPU.csdata,"",@progbits
; Kernel info:
; codeLenInByte = 700
; TotalNumSgprs: 22
; NumVgprs: 15
; ScratchSize: 0
; MemoryBound: 0
; FloatMode: 240
; IeeeMode: 1
; LDSByteSize: 0 bytes/workgroup (compile time only)
; SGPRBlocks: 2
; VGPRBlocks: 3
; NumSGPRsForWavesPerEU: 22
; NumVGPRsForWavesPerEU: 15
; Occupancy: 10
; WaveLimiterHint : 0
; COMPUTE_PGM_RSRC2:SCRATCH_EN: 0
; COMPUTE_PGM_RSRC2:USER_SGPR: 6
; COMPUTE_PGM_RSRC2:TRAP_HANDLER: 0
; COMPUTE_PGM_RSRC2:TGID_X_EN: 1
; COMPUTE_PGM_RSRC2:TGID_Y_EN: 0
; COMPUTE_PGM_RSRC2:TGID_Z_EN: 0
; COMPUTE_PGM_RSRC2:TIDIG_COMP_CNT: 0
	.section	.text._Z10pnpoly_optILi4EEvPiPK15HIP_vector_typeIfLj2EES4_i,"axG",@progbits,_Z10pnpoly_optILi4EEvPiPK15HIP_vector_typeIfLj2EES4_i,comdat
	.protected	_Z10pnpoly_optILi4EEvPiPK15HIP_vector_typeIfLj2EES4_i ; -- Begin function _Z10pnpoly_optILi4EEvPiPK15HIP_vector_typeIfLj2EES4_i
	.globl	_Z10pnpoly_optILi4EEvPiPK15HIP_vector_typeIfLj2EES4_i
	.p2align	8
	.type	_Z10pnpoly_optILi4EEvPiPK15HIP_vector_typeIfLj2EES4_i,@function
_Z10pnpoly_optILi4EEvPiPK15HIP_vector_typeIfLj2EES4_i: ; @_Z10pnpoly_optILi4EEvPiPK15HIP_vector_typeIfLj2EES4_i
; %bb.0:
	s_load_dword s12, s[4:5], 0x18
	v_lshl_or_b32 v0, s6, 10, v0
	s_waitcnt lgkmcnt(0)
	v_cmp_gt_i32_e32 vcc, s12, v0
	s_and_saveexec_b64 s[0:1], vcc
	s_cbranch_execz .LBB3_30
; %bb.1:
	s_load_dwordx2 s[0:1], s[4:5], 0x8
	v_ashrrev_i32_e32 v1, 31, v0
	v_lshlrev_b64 v[2:3], 3, v[0:1]
	s_waitcnt lgkmcnt(0)
	v_mov_b32_e32 v4, s1
	v_add_co_u32_e32 v10, vcc, s0, v2
	v_addc_co_u32_e32 v11, vcc, v4, v3, vcc
	global_load_dwordx2 v[2:3], v[10:11], off
	v_add_u32_e32 v4, 0x100, v0
	v_cmp_gt_i32_e64 s[0:1], s12, v4
                                        ; implicit-def: $vgpr5
	s_and_saveexec_b64 s[2:3], s[0:1]
	s_cbranch_execz .LBB3_3
; %bb.2:
	global_load_dwordx2 v[4:5], v[10:11], off offset:2048
.LBB3_3:
	s_or_b64 exec, exec, s[2:3]
	s_load_dwordx2 s[8:9], s[4:5], 0x10
	v_add_u32_e32 v6, 0x200, v0
	v_cmp_gt_i32_e64 s[2:3], s12, v6
                                        ; implicit-def: $vgpr7
	s_and_saveexec_b64 s[6:7], s[2:3]
	s_cbranch_execz .LBB3_5
; %bb.4:
	v_add_co_u32_e32 v6, vcc, 0x1000, v10
	v_addc_co_u32_e32 v7, vcc, 0, v11, vcc
	global_load_dwordx2 v[6:7], v[6:7], off
.LBB3_5:
	s_or_b64 exec, exec, s[6:7]
	s_load_dwordx2 s[10:11], s[4:5], 0x0
	v_add_u32_e32 v8, 0x300, v0
	v_cmp_gt_i32_e64 s[4:5], s12, v8
                                        ; implicit-def: $vgpr9
	s_and_saveexec_b64 s[6:7], s[4:5]
	s_cbranch_execz .LBB3_7
; %bb.6:
	v_add_co_u32_e32 v8, vcc, 0x1000, v10
	v_addc_co_u32_e32 v9, vcc, 0, v11, vcc
	global_load_dwordx2 v[8:9], v[8:9], off offset:2048
.LBB3_7:
	s_or_b64 exec, exec, s[6:7]
	s_waitcnt lgkmcnt(0)
	s_load_dwordx2 s[16:17], s[8:9], 0x12b8
	v_mov_b32_e32 v13, 0
	v_mov_b32_e32 v12, v13
	;; [unrolled: 1-line block ×4, first 2 shown]
	s_mov_b64 s[12:13], 0
	s_waitcnt lgkmcnt(0)
	s_mov_b32 s14, s16
.LBB3_8:                                ; =>This Inner Loop Header: Depth=1
	s_add_u32 s6, s8, s12
	s_addc_u32 s7, s9, s13
	s_mov_b32 s16, s14
	s_load_dwordx2 s[14:15], s[6:7], 0x0
	s_waitcnt lgkmcnt(0)
	v_mov_b32_e32 v14, s14
	v_mov_b32_e32 v15, s15
	v_sub_f32_e32 v14, s16, v14
	v_sub_f32_e32 v15, s17, v15
	v_div_scale_f32 v16, s[6:7], v15, v15, v14
	v_div_scale_f32 v17, vcc, v14, v15, v14
	s_waitcnt vmcnt(0)
	v_cmp_gt_f32_e64 s[6:7], s15, v3
	v_rcp_f32_e32 v18, v16
	v_fma_f32 v19, -v16, v18, 1.0
	v_fmac_f32_e32 v18, v19, v18
	v_mul_f32_e32 v19, v17, v18
	v_fma_f32 v20, -v16, v19, v17
	v_fmac_f32_e32 v19, v20, v18
	v_fma_f32 v16, -v16, v19, v17
	v_div_fmas_f32 v16, v16, v18, v19
	v_cmp_ngt_f32_e32 vcc, s17, v3
	s_xor_b64 s[6:7], s[6:7], vcc
	s_xor_b64 s[18:19], s[6:7], -1
	v_div_fixup_f32 v14, v16, v15, v14
	s_and_saveexec_b64 s[6:7], s[18:19]
	s_cbranch_execz .LBB3_12
; %bb.9:                                ;   in Loop: Header=BB3_8 Depth=1
	v_subrev_f32_e32 v15, s15, v3
	v_fma_f32 v15, v14, v15, s14
	v_cmp_lt_f32_e32 vcc, v2, v15
	s_and_saveexec_b64 s[18:19], vcc
; %bb.10:                               ;   in Loop: Header=BB3_8 Depth=1
	v_cmp_eq_u32_e32 vcc, 0, v13
	v_cndmask_b32_e64 v13, 0, 1, vcc
; %bb.11:                               ;   in Loop: Header=BB3_8 Depth=1
	s_or_b64 exec, exec, s[18:19]
.LBB3_12:                               ;   in Loop: Header=BB3_8 Depth=1
	s_or_b64 exec, exec, s[6:7]
	v_cmp_gt_f32_e32 vcc, s15, v5
	v_cmp_ngt_f32_e64 s[6:7], s17, v5
	s_xor_b64 s[6:7], vcc, s[6:7]
	s_xor_b64 s[18:19], s[6:7], -1
	s_and_saveexec_b64 s[6:7], s[18:19]
	s_cbranch_execz .LBB3_16
; %bb.13:                               ;   in Loop: Header=BB3_8 Depth=1
	v_subrev_f32_e32 v15, s15, v5
	v_fma_f32 v15, v14, v15, s14
	v_cmp_lt_f32_e32 vcc, v4, v15
	s_and_saveexec_b64 s[18:19], vcc
; %bb.14:                               ;   in Loop: Header=BB3_8 Depth=1
	v_cmp_eq_u32_e32 vcc, 0, v12
	v_cndmask_b32_e64 v12, 0, 1, vcc
; %bb.15:                               ;   in Loop: Header=BB3_8 Depth=1
	s_or_b64 exec, exec, s[18:19]
.LBB3_16:                               ;   in Loop: Header=BB3_8 Depth=1
	s_or_b64 exec, exec, s[6:7]
	v_cmp_gt_f32_e32 vcc, s15, v7
	v_cmp_ngt_f32_e64 s[6:7], s17, v7
	s_xor_b64 s[6:7], vcc, s[6:7]
	s_xor_b64 s[18:19], s[6:7], -1
	s_and_saveexec_b64 s[6:7], s[18:19]
	s_cbranch_execz .LBB3_20
; %bb.17:                               ;   in Loop: Header=BB3_8 Depth=1
	v_subrev_f32_e32 v15, s15, v7
	v_fma_f32 v15, v14, v15, s14
	v_cmp_lt_f32_e32 vcc, v6, v15
	s_and_saveexec_b64 s[18:19], vcc
; %bb.18:                               ;   in Loop: Header=BB3_8 Depth=1
	v_cmp_eq_u32_e32 vcc, 0, v11
	v_cndmask_b32_e64 v11, 0, 1, vcc
; %bb.19:                               ;   in Loop: Header=BB3_8 Depth=1
	s_or_b64 exec, exec, s[18:19]
.LBB3_20:                               ;   in Loop: Header=BB3_8 Depth=1
	;; [unrolled: 18-line block ×3, first 2 shown]
	s_or_b64 exec, exec, s[6:7]
	s_add_u32 s12, s12, 8
	s_addc_u32 s13, s13, 0
	s_cmpk_lg_i32 s12, 0x12c0
	s_cbranch_scc0 .LBB3_26
; %bb.25:                               ;   in Loop: Header=BB3_8 Depth=1
	s_mov_b32 s17, s15
	s_branch .LBB3_8
.LBB3_26:
	v_lshlrev_b64 v[0:1], 2, v[0:1]
	v_mov_b32_e32 v2, s11
	v_add_co_u32_e32 v0, vcc, s10, v0
	v_addc_co_u32_e32 v1, vcc, v2, v1, vcc
	global_store_dword v[0:1], v13, off
	s_and_saveexec_b64 s[6:7], s[0:1]
	s_cbranch_execnz .LBB3_31
; %bb.27:
	s_or_b64 exec, exec, s[6:7]
	s_and_saveexec_b64 s[0:1], s[2:3]
	s_cbranch_execnz .LBB3_32
.LBB3_28:
	s_or_b64 exec, exec, s[0:1]
	s_and_b64 exec, exec, s[4:5]
	s_cbranch_execz .LBB3_30
.LBB3_29:
	global_store_dword v[0:1], v10, off offset:3072
.LBB3_30:
	s_endpgm
.LBB3_31:
	global_store_dword v[0:1], v12, off offset:1024
	s_or_b64 exec, exec, s[6:7]
	s_and_saveexec_b64 s[0:1], s[2:3]
	s_cbranch_execz .LBB3_28
.LBB3_32:
	global_store_dword v[0:1], v11, off offset:2048
	s_or_b64 exec, exec, s[0:1]
	s_and_b64 exec, exec, s[4:5]
	s_cbranch_execnz .LBB3_29
	s_branch .LBB3_30
	.section	.rodata,"a",@progbits
	.p2align	6, 0x0
	.amdhsa_kernel _Z10pnpoly_optILi4EEvPiPK15HIP_vector_typeIfLj2EES4_i
		.amdhsa_group_segment_fixed_size 0
		.amdhsa_private_segment_fixed_size 0
		.amdhsa_kernarg_size 28
		.amdhsa_user_sgpr_count 6
		.amdhsa_user_sgpr_private_segment_buffer 1
		.amdhsa_user_sgpr_dispatch_ptr 0
		.amdhsa_user_sgpr_queue_ptr 0
		.amdhsa_user_sgpr_kernarg_segment_ptr 1
		.amdhsa_user_sgpr_dispatch_id 0
		.amdhsa_user_sgpr_flat_scratch_init 0
		.amdhsa_user_sgpr_private_segment_size 0
		.amdhsa_uses_dynamic_stack 0
		.amdhsa_system_sgpr_private_segment_wavefront_offset 0
		.amdhsa_system_sgpr_workgroup_id_x 1
		.amdhsa_system_sgpr_workgroup_id_y 0
		.amdhsa_system_sgpr_workgroup_id_z 0
		.amdhsa_system_sgpr_workgroup_info 0
		.amdhsa_system_vgpr_workitem_id 0
		.amdhsa_next_free_vgpr 21
		.amdhsa_next_free_sgpr 20
		.amdhsa_reserve_vcc 1
		.amdhsa_reserve_flat_scratch 0
		.amdhsa_float_round_mode_32 0
		.amdhsa_float_round_mode_16_64 0
		.amdhsa_float_denorm_mode_32 3
		.amdhsa_float_denorm_mode_16_64 3
		.amdhsa_dx10_clamp 1
		.amdhsa_ieee_mode 1
		.amdhsa_fp16_overflow 0
		.amdhsa_exception_fp_ieee_invalid_op 0
		.amdhsa_exception_fp_denorm_src 0
		.amdhsa_exception_fp_ieee_div_zero 0
		.amdhsa_exception_fp_ieee_overflow 0
		.amdhsa_exception_fp_ieee_underflow 0
		.amdhsa_exception_fp_ieee_inexact 0
		.amdhsa_exception_int_div_zero 0
	.end_amdhsa_kernel
	.section	.text._Z10pnpoly_optILi4EEvPiPK15HIP_vector_typeIfLj2EES4_i,"axG",@progbits,_Z10pnpoly_optILi4EEvPiPK15HIP_vector_typeIfLj2EES4_i,comdat
.Lfunc_end3:
	.size	_Z10pnpoly_optILi4EEvPiPK15HIP_vector_typeIfLj2EES4_i, .Lfunc_end3-_Z10pnpoly_optILi4EEvPiPK15HIP_vector_typeIfLj2EES4_i
                                        ; -- End function
	.set _Z10pnpoly_optILi4EEvPiPK15HIP_vector_typeIfLj2EES4_i.num_vgpr, 21
	.set _Z10pnpoly_optILi4EEvPiPK15HIP_vector_typeIfLj2EES4_i.num_agpr, 0
	.set _Z10pnpoly_optILi4EEvPiPK15HIP_vector_typeIfLj2EES4_i.numbered_sgpr, 20
	.set _Z10pnpoly_optILi4EEvPiPK15HIP_vector_typeIfLj2EES4_i.num_named_barrier, 0
	.set _Z10pnpoly_optILi4EEvPiPK15HIP_vector_typeIfLj2EES4_i.private_seg_size, 0
	.set _Z10pnpoly_optILi4EEvPiPK15HIP_vector_typeIfLj2EES4_i.uses_vcc, 1
	.set _Z10pnpoly_optILi4EEvPiPK15HIP_vector_typeIfLj2EES4_i.uses_flat_scratch, 0
	.set _Z10pnpoly_optILi4EEvPiPK15HIP_vector_typeIfLj2EES4_i.has_dyn_sized_stack, 0
	.set _Z10pnpoly_optILi4EEvPiPK15HIP_vector_typeIfLj2EES4_i.has_recursion, 0
	.set _Z10pnpoly_optILi4EEvPiPK15HIP_vector_typeIfLj2EES4_i.has_indirect_call, 0
	.section	.AMDGPU.csdata,"",@progbits
; Kernel info:
; codeLenInByte = 792
; TotalNumSgprs: 24
; NumVgprs: 21
; ScratchSize: 0
; MemoryBound: 0
; FloatMode: 240
; IeeeMode: 1
; LDSByteSize: 0 bytes/workgroup (compile time only)
; SGPRBlocks: 2
; VGPRBlocks: 5
; NumSGPRsForWavesPerEU: 24
; NumVGPRsForWavesPerEU: 21
; Occupancy: 10
; WaveLimiterHint : 0
; COMPUTE_PGM_RSRC2:SCRATCH_EN: 0
; COMPUTE_PGM_RSRC2:USER_SGPR: 6
; COMPUTE_PGM_RSRC2:TRAP_HANDLER: 0
; COMPUTE_PGM_RSRC2:TGID_X_EN: 1
; COMPUTE_PGM_RSRC2:TGID_Y_EN: 0
; COMPUTE_PGM_RSRC2:TGID_Z_EN: 0
; COMPUTE_PGM_RSRC2:TIDIG_COMP_CNT: 0
	.section	.text._Z10pnpoly_optILi8EEvPiPK15HIP_vector_typeIfLj2EES4_i,"axG",@progbits,_Z10pnpoly_optILi8EEvPiPK15HIP_vector_typeIfLj2EES4_i,comdat
	.protected	_Z10pnpoly_optILi8EEvPiPK15HIP_vector_typeIfLj2EES4_i ; -- Begin function _Z10pnpoly_optILi8EEvPiPK15HIP_vector_typeIfLj2EES4_i
	.globl	_Z10pnpoly_optILi8EEvPiPK15HIP_vector_typeIfLj2EES4_i
	.p2align	8
	.type	_Z10pnpoly_optILi8EEvPiPK15HIP_vector_typeIfLj2EES4_i,@function
_Z10pnpoly_optILi8EEvPiPK15HIP_vector_typeIfLj2EES4_i: ; @_Z10pnpoly_optILi8EEvPiPK15HIP_vector_typeIfLj2EES4_i
; %bb.0:
	s_load_dword s20, s[4:5], 0x18
	v_lshl_or_b32 v0, s6, 11, v0
	s_waitcnt lgkmcnt(0)
	v_cmp_gt_i32_e32 vcc, s20, v0
	s_and_saveexec_b64 s[0:1], vcc
	s_cbranch_execz .LBB4_58
; %bb.1:
	s_load_dwordx2 s[8:9], s[4:5], 0x8
	v_ashrrev_i32_e32 v1, 31, v0
	v_lshlrev_b64 v[2:3], 3, v[0:1]
	s_waitcnt lgkmcnt(0)
	v_mov_b32_e32 v4, s9
	v_add_co_u32_e32 v20, vcc, s8, v2
	v_addc_co_u32_e32 v21, vcc, v4, v3, vcc
	global_load_dwordx2 v[2:3], v[20:21], off
	v_add_u32_e32 v4, 0x100, v0
	v_cmp_gt_i32_e64 s[0:1], s20, v4
                                        ; implicit-def: $vgpr5
	s_and_saveexec_b64 s[2:3], s[0:1]
	s_cbranch_execz .LBB4_3
; %bb.2:
	global_load_dwordx2 v[4:5], v[20:21], off offset:2048
.LBB4_3:
	s_or_b64 exec, exec, s[2:3]
	v_add_u32_e32 v6, 0x200, v0
	v_cmp_gt_i32_e64 s[2:3], s20, v6
                                        ; implicit-def: $vgpr9
	s_and_saveexec_b64 s[6:7], s[2:3]
	s_cbranch_execz .LBB4_5
; %bb.4:
	v_add_co_u32_e32 v6, vcc, 0x1000, v20
	v_addc_co_u32_e32 v7, vcc, 0, v21, vcc
	global_load_dwordx2 v[8:9], v[6:7], off
.LBB4_5:
	s_or_b64 exec, exec, s[6:7]
	v_add_u32_e32 v6, 0x300, v0
	v_cmp_gt_i32_e64 s[14:15], s20, v6
                                        ; implicit-def: $vgpr11
	s_and_saveexec_b64 s[6:7], s[14:15]
	s_cbranch_execz .LBB4_7
; %bb.6:
	v_add_co_u32_e32 v6, vcc, 0x1000, v20
	v_addc_co_u32_e32 v7, vcc, 0, v21, vcc
	global_load_dwordx2 v[10:11], v[6:7], off offset:2048
.LBB4_7:
	s_or_b64 exec, exec, s[6:7]
	v_or_b32_e32 v6, 0x400, v0
	v_cmp_gt_i32_e64 s[6:7], s20, v6
	v_ashrrev_i32_e32 v7, 31, v6
                                        ; implicit-def: $vgpr13
	s_and_saveexec_b64 s[10:11], s[6:7]
	s_cbranch_execz .LBB4_9
; %bb.8:
	v_lshlrev_b64 v[12:13], 3, v[6:7]
	v_mov_b32_e32 v14, s9
	v_add_co_u32_e32 v12, vcc, s8, v12
	v_addc_co_u32_e32 v13, vcc, v14, v13, vcc
	global_load_dwordx2 v[12:13], v[12:13], off
.LBB4_9:
	s_or_b64 exec, exec, s[10:11]
	v_add_u32_e32 v14, 0x500, v0
	v_cmp_gt_i32_e64 s[8:9], s20, v14
                                        ; implicit-def: $vgpr15
	s_and_saveexec_b64 s[10:11], s[8:9]
	s_cbranch_execz .LBB4_11
; %bb.10:
	v_add_co_u32_e32 v14, vcc, 0x2000, v20
	v_addc_co_u32_e32 v15, vcc, 0, v21, vcc
	global_load_dwordx2 v[14:15], v[14:15], off offset:2048
.LBB4_11:
	s_or_b64 exec, exec, s[10:11]
	s_load_dwordx2 s[18:19], s[4:5], 0x10
	v_add_u32_e32 v16, 0x600, v0
	v_cmp_gt_i32_e64 s[10:11], s20, v16
                                        ; implicit-def: $vgpr17
	s_and_saveexec_b64 s[12:13], s[10:11]
	s_cbranch_execz .LBB4_13
; %bb.12:
	v_add_co_u32_e32 v16, vcc, 0x3000, v20
	v_addc_co_u32_e32 v17, vcc, 0, v21, vcc
	global_load_dwordx2 v[16:17], v[16:17], off
.LBB4_13:
	s_or_b64 exec, exec, s[12:13]
	s_load_dwordx2 s[16:17], s[4:5], 0x0
	v_add_u32_e32 v18, 0x700, v0
	v_cmp_gt_i32_e64 s[12:13], s20, v18
                                        ; implicit-def: $vgpr19
	s_and_saveexec_b64 s[4:5], s[12:13]
	s_cbranch_execz .LBB4_15
; %bb.14:
	v_add_co_u32_e32 v18, vcc, 0x3000, v20
	v_addc_co_u32_e32 v19, vcc, 0, v21, vcc
	global_load_dwordx2 v[18:19], v[18:19], off offset:2048
.LBB4_15:
	s_or_b64 exec, exec, s[4:5]
	s_waitcnt lgkmcnt(0)
	s_load_dwordx2 s[24:25], s[18:19], 0x12b8
	v_mov_b32_e32 v27, 0
	v_mov_b32_e32 v26, v27
	;; [unrolled: 1-line block ×8, first 2 shown]
	s_mov_b64 s[20:21], 0
	s_waitcnt lgkmcnt(0)
	s_mov_b32 s22, s24
.LBB4_16:                               ; =>This Inner Loop Header: Depth=1
	s_add_u32 s4, s18, s20
	s_addc_u32 s5, s19, s21
	s_mov_b32 s24, s22
	s_load_dwordx2 s[22:23], s[4:5], 0x0
	s_waitcnt lgkmcnt(0)
	v_mov_b32_e32 v28, s22
	v_mov_b32_e32 v29, s23
	v_sub_f32_e32 v28, s24, v28
	v_sub_f32_e32 v29, s25, v29
	v_div_scale_f32 v30, s[4:5], v29, v29, v28
	v_div_scale_f32 v31, vcc, v28, v29, v28
	s_waitcnt vmcnt(0)
	v_cmp_gt_f32_e64 s[4:5], s23, v3
	v_rcp_f32_e32 v32, v30
	v_fma_f32 v33, -v30, v32, 1.0
	v_fmac_f32_e32 v32, v33, v32
	v_mul_f32_e32 v33, v31, v32
	v_fma_f32 v34, -v30, v33, v31
	v_fmac_f32_e32 v33, v34, v32
	v_fma_f32 v30, -v30, v33, v31
	v_div_fmas_f32 v30, v30, v32, v33
	v_cmp_ngt_f32_e32 vcc, s25, v3
	s_xor_b64 s[4:5], s[4:5], vcc
	s_xor_b64 s[26:27], s[4:5], -1
	v_div_fixup_f32 v28, v30, v29, v28
	s_and_saveexec_b64 s[4:5], s[26:27]
	s_cbranch_execz .LBB4_20
; %bb.17:                               ;   in Loop: Header=BB4_16 Depth=1
	v_subrev_f32_e32 v29, s23, v3
	v_fma_f32 v29, v28, v29, s22
	v_cmp_lt_f32_e32 vcc, v2, v29
	s_and_saveexec_b64 s[26:27], vcc
; %bb.18:                               ;   in Loop: Header=BB4_16 Depth=1
	v_cmp_eq_u32_e32 vcc, 0, v27
	v_cndmask_b32_e64 v27, 0, 1, vcc
; %bb.19:                               ;   in Loop: Header=BB4_16 Depth=1
	s_or_b64 exec, exec, s[26:27]
.LBB4_20:                               ;   in Loop: Header=BB4_16 Depth=1
	s_or_b64 exec, exec, s[4:5]
	v_cmp_gt_f32_e32 vcc, s23, v5
	v_cmp_ngt_f32_e64 s[4:5], s25, v5
	s_xor_b64 s[4:5], vcc, s[4:5]
	s_xor_b64 s[26:27], s[4:5], -1
	s_and_saveexec_b64 s[4:5], s[26:27]
	s_cbranch_execz .LBB4_24
; %bb.21:                               ;   in Loop: Header=BB4_16 Depth=1
	v_subrev_f32_e32 v29, s23, v5
	v_fma_f32 v29, v28, v29, s22
	v_cmp_lt_f32_e32 vcc, v4, v29
	s_and_saveexec_b64 s[26:27], vcc
; %bb.22:                               ;   in Loop: Header=BB4_16 Depth=1
	v_cmp_eq_u32_e32 vcc, 0, v26
	v_cndmask_b32_e64 v26, 0, 1, vcc
; %bb.23:                               ;   in Loop: Header=BB4_16 Depth=1
	s_or_b64 exec, exec, s[26:27]
.LBB4_24:                               ;   in Loop: Header=BB4_16 Depth=1
	s_or_b64 exec, exec, s[4:5]
	v_cmp_gt_f32_e32 vcc, s23, v9
	v_cmp_ngt_f32_e64 s[4:5], s25, v9
	s_xor_b64 s[4:5], vcc, s[4:5]
	s_xor_b64 s[26:27], s[4:5], -1
	;; [unrolled: 18-line block ×7, first 2 shown]
	s_and_saveexec_b64 s[4:5], s[24:25]
	s_cbranch_execz .LBB4_48
; %bb.45:                               ;   in Loop: Header=BB4_16 Depth=1
	v_subrev_f32_e32 v29, s23, v19
	v_fma_f32 v28, v28, v29, s22
	v_cmp_lt_f32_e32 vcc, v18, v28
	s_and_saveexec_b64 s[24:25], vcc
; %bb.46:                               ;   in Loop: Header=BB4_16 Depth=1
	v_cmp_eq_u32_e32 vcc, 0, v20
	v_cndmask_b32_e64 v20, 0, 1, vcc
; %bb.47:                               ;   in Loop: Header=BB4_16 Depth=1
	s_or_b64 exec, exec, s[24:25]
.LBB4_48:                               ;   in Loop: Header=BB4_16 Depth=1
	s_or_b64 exec, exec, s[4:5]
	s_add_u32 s20, s20, 8
	s_addc_u32 s21, s21, 0
	s_cmpk_lg_i32 s20, 0x12c0
	s_cbranch_scc0 .LBB4_50
; %bb.49:                               ;   in Loop: Header=BB4_16 Depth=1
	s_mov_b32 s25, s23
	s_branch .LBB4_16
.LBB4_50:
	v_lshlrev_b64 v[0:1], 2, v[0:1]
	v_mov_b32_e32 v2, s17
	v_add_co_u32_e32 v0, vcc, s16, v0
	v_addc_co_u32_e32 v1, vcc, v2, v1, vcc
	global_store_dword v[0:1], v27, off
	s_and_saveexec_b64 s[4:5], s[0:1]
	s_cbranch_execnz .LBB4_59
; %bb.51:
	s_or_b64 exec, exec, s[4:5]
	s_and_saveexec_b64 s[0:1], s[2:3]
	s_cbranch_execnz .LBB4_60
.LBB4_52:
	s_or_b64 exec, exec, s[0:1]
	s_and_saveexec_b64 s[0:1], s[14:15]
	s_cbranch_execnz .LBB4_61
.LBB4_53:
	s_or_b64 exec, exec, s[0:1]
	s_and_saveexec_b64 s[0:1], s[6:7]
	s_cbranch_execnz .LBB4_62
.LBB4_54:
	s_or_b64 exec, exec, s[0:1]
	s_and_saveexec_b64 s[0:1], s[8:9]
	s_cbranch_execnz .LBB4_63
.LBB4_55:
	s_or_b64 exec, exec, s[0:1]
	s_and_saveexec_b64 s[0:1], s[10:11]
	s_cbranch_execnz .LBB4_64
.LBB4_56:
	s_or_b64 exec, exec, s[0:1]
	s_and_b64 exec, exec, s[12:13]
	s_cbranch_execz .LBB4_58
.LBB4_57:
	v_add_co_u32_e32 v0, vcc, 0x1000, v0
	v_addc_co_u32_e32 v1, vcc, 0, v1, vcc
	global_store_dword v[0:1], v20, off offset:3072
.LBB4_58:
	s_endpgm
.LBB4_59:
	global_store_dword v[0:1], v26, off offset:1024
	s_or_b64 exec, exec, s[4:5]
	s_and_saveexec_b64 s[0:1], s[2:3]
	s_cbranch_execz .LBB4_52
.LBB4_60:
	global_store_dword v[0:1], v25, off offset:2048
	s_or_b64 exec, exec, s[0:1]
	s_and_saveexec_b64 s[0:1], s[14:15]
	s_cbranch_execz .LBB4_53
.LBB4_61:
	global_store_dword v[0:1], v24, off offset:3072
	s_or_b64 exec, exec, s[0:1]
	s_and_saveexec_b64 s[0:1], s[6:7]
	s_cbranch_execz .LBB4_54
.LBB4_62:
	v_lshlrev_b64 v[2:3], 2, v[6:7]
	v_mov_b32_e32 v4, s17
	v_add_co_u32_e32 v2, vcc, s16, v2
	v_addc_co_u32_e32 v3, vcc, v4, v3, vcc
	global_store_dword v[2:3], v23, off
	s_or_b64 exec, exec, s[0:1]
	s_and_saveexec_b64 s[0:1], s[8:9]
	s_cbranch_execz .LBB4_55
.LBB4_63:
	v_add_co_u32_e32 v2, vcc, 0x1000, v0
	v_addc_co_u32_e32 v3, vcc, 0, v1, vcc
	global_store_dword v[2:3], v22, off offset:1024
	s_or_b64 exec, exec, s[0:1]
	s_and_saveexec_b64 s[0:1], s[10:11]
	s_cbranch_execz .LBB4_56
.LBB4_64:
	v_add_co_u32_e32 v2, vcc, 0x1000, v0
	v_addc_co_u32_e32 v3, vcc, 0, v1, vcc
	global_store_dword v[2:3], v21, off offset:2048
	s_or_b64 exec, exec, s[0:1]
	s_and_b64 exec, exec, s[12:13]
	s_cbranch_execnz .LBB4_57
	s_branch .LBB4_58
	.section	.rodata,"a",@progbits
	.p2align	6, 0x0
	.amdhsa_kernel _Z10pnpoly_optILi8EEvPiPK15HIP_vector_typeIfLj2EES4_i
		.amdhsa_group_segment_fixed_size 0
		.amdhsa_private_segment_fixed_size 0
		.amdhsa_kernarg_size 28
		.amdhsa_user_sgpr_count 6
		.amdhsa_user_sgpr_private_segment_buffer 1
		.amdhsa_user_sgpr_dispatch_ptr 0
		.amdhsa_user_sgpr_queue_ptr 0
		.amdhsa_user_sgpr_kernarg_segment_ptr 1
		.amdhsa_user_sgpr_dispatch_id 0
		.amdhsa_user_sgpr_flat_scratch_init 0
		.amdhsa_user_sgpr_private_segment_size 0
		.amdhsa_uses_dynamic_stack 0
		.amdhsa_system_sgpr_private_segment_wavefront_offset 0
		.amdhsa_system_sgpr_workgroup_id_x 1
		.amdhsa_system_sgpr_workgroup_id_y 0
		.amdhsa_system_sgpr_workgroup_id_z 0
		.amdhsa_system_sgpr_workgroup_info 0
		.amdhsa_system_vgpr_workitem_id 0
		.amdhsa_next_free_vgpr 35
		.amdhsa_next_free_sgpr 28
		.amdhsa_reserve_vcc 1
		.amdhsa_reserve_flat_scratch 0
		.amdhsa_float_round_mode_32 0
		.amdhsa_float_round_mode_16_64 0
		.amdhsa_float_denorm_mode_32 3
		.amdhsa_float_denorm_mode_16_64 3
		.amdhsa_dx10_clamp 1
		.amdhsa_ieee_mode 1
		.amdhsa_fp16_overflow 0
		.amdhsa_exception_fp_ieee_invalid_op 0
		.amdhsa_exception_fp_denorm_src 0
		.amdhsa_exception_fp_ieee_div_zero 0
		.amdhsa_exception_fp_ieee_overflow 0
		.amdhsa_exception_fp_ieee_underflow 0
		.amdhsa_exception_fp_ieee_inexact 0
		.amdhsa_exception_int_div_zero 0
	.end_amdhsa_kernel
	.section	.text._Z10pnpoly_optILi8EEvPiPK15HIP_vector_typeIfLj2EES4_i,"axG",@progbits,_Z10pnpoly_optILi8EEvPiPK15HIP_vector_typeIfLj2EES4_i,comdat
.Lfunc_end4:
	.size	_Z10pnpoly_optILi8EEvPiPK15HIP_vector_typeIfLj2EES4_i, .Lfunc_end4-_Z10pnpoly_optILi8EEvPiPK15HIP_vector_typeIfLj2EES4_i
                                        ; -- End function
	.set _Z10pnpoly_optILi8EEvPiPK15HIP_vector_typeIfLj2EES4_i.num_vgpr, 35
	.set _Z10pnpoly_optILi8EEvPiPK15HIP_vector_typeIfLj2EES4_i.num_agpr, 0
	.set _Z10pnpoly_optILi8EEvPiPK15HIP_vector_typeIfLj2EES4_i.numbered_sgpr, 28
	.set _Z10pnpoly_optILi8EEvPiPK15HIP_vector_typeIfLj2EES4_i.num_named_barrier, 0
	.set _Z10pnpoly_optILi8EEvPiPK15HIP_vector_typeIfLj2EES4_i.private_seg_size, 0
	.set _Z10pnpoly_optILi8EEvPiPK15HIP_vector_typeIfLj2EES4_i.uses_vcc, 1
	.set _Z10pnpoly_optILi8EEvPiPK15HIP_vector_typeIfLj2EES4_i.uses_flat_scratch, 0
	.set _Z10pnpoly_optILi8EEvPiPK15HIP_vector_typeIfLj2EES4_i.has_dyn_sized_stack, 0
	.set _Z10pnpoly_optILi8EEvPiPK15HIP_vector_typeIfLj2EES4_i.has_recursion, 0
	.set _Z10pnpoly_optILi8EEvPiPK15HIP_vector_typeIfLj2EES4_i.has_indirect_call, 0
	.section	.AMDGPU.csdata,"",@progbits
; Kernel info:
; codeLenInByte = 1468
; TotalNumSgprs: 32
; NumVgprs: 35
; ScratchSize: 0
; MemoryBound: 0
; FloatMode: 240
; IeeeMode: 1
; LDSByteSize: 0 bytes/workgroup (compile time only)
; SGPRBlocks: 3
; VGPRBlocks: 8
; NumSGPRsForWavesPerEU: 32
; NumVGPRsForWavesPerEU: 35
; Occupancy: 7
; WaveLimiterHint : 0
; COMPUTE_PGM_RSRC2:SCRATCH_EN: 0
; COMPUTE_PGM_RSRC2:USER_SGPR: 6
; COMPUTE_PGM_RSRC2:TRAP_HANDLER: 0
; COMPUTE_PGM_RSRC2:TGID_X_EN: 1
; COMPUTE_PGM_RSRC2:TGID_Y_EN: 0
; COMPUTE_PGM_RSRC2:TGID_Z_EN: 0
; COMPUTE_PGM_RSRC2:TIDIG_COMP_CNT: 0
	.section	.text._Z10pnpoly_optILi16EEvPiPK15HIP_vector_typeIfLj2EES4_i,"axG",@progbits,_Z10pnpoly_optILi16EEvPiPK15HIP_vector_typeIfLj2EES4_i,comdat
	.protected	_Z10pnpoly_optILi16EEvPiPK15HIP_vector_typeIfLj2EES4_i ; -- Begin function _Z10pnpoly_optILi16EEvPiPK15HIP_vector_typeIfLj2EES4_i
	.globl	_Z10pnpoly_optILi16EEvPiPK15HIP_vector_typeIfLj2EES4_i
	.p2align	8
	.type	_Z10pnpoly_optILi16EEvPiPK15HIP_vector_typeIfLj2EES4_i,@function
_Z10pnpoly_optILi16EEvPiPK15HIP_vector_typeIfLj2EES4_i: ; @_Z10pnpoly_optILi16EEvPiPK15HIP_vector_typeIfLj2EES4_i
; %bb.0:
	s_load_dword s33, s[4:5], 0x18
	v_lshl_or_b32 v0, s6, 12, v0
	s_waitcnt lgkmcnt(0)
	v_cmp_gt_i32_e32 vcc, s33, v0
	s_and_saveexec_b64 s[0:1], vcc
	s_cbranch_execz .LBB5_114
; %bb.1:
	s_load_dwordx2 s[24:25], s[4:5], 0x8
	v_ashrrev_i32_e32 v1, 31, v0
	v_lshlrev_b64 v[2:3], 3, v[0:1]
	s_waitcnt lgkmcnt(0)
	v_mov_b32_e32 v4, s25
	v_add_co_u32_e32 v40, vcc, s24, v2
	v_addc_co_u32_e32 v41, vcc, v4, v3, vcc
	global_load_dwordx2 v[2:3], v[40:41], off
	v_add_u32_e32 v4, 0x100, v0
	v_cmp_gt_i32_e64 s[0:1], s33, v4
                                        ; implicit-def: $vgpr5
	s_and_saveexec_b64 s[2:3], s[0:1]
	s_cbranch_execz .LBB5_3
; %bb.2:
	global_load_dwordx2 v[4:5], v[40:41], off offset:2048
.LBB5_3:
	s_or_b64 exec, exec, s[2:3]
	v_add_u32_e32 v6, 0x200, v0
	v_cmp_gt_i32_e64 s[2:3], s33, v6
                                        ; implicit-def: $vgpr9
	s_and_saveexec_b64 s[6:7], s[2:3]
	s_cbranch_execz .LBB5_5
; %bb.4:
	v_add_co_u32_e32 v6, vcc, 0x1000, v40
	v_addc_co_u32_e32 v7, vcc, 0, v41, vcc
	global_load_dwordx2 v[8:9], v[6:7], off
.LBB5_5:
	s_or_b64 exec, exec, s[6:7]
	v_add_u32_e32 v6, 0x300, v0
	v_cmp_gt_i32_e64 s[30:31], s33, v6
                                        ; implicit-def: $vgpr11
	s_and_saveexec_b64 s[6:7], s[30:31]
	s_cbranch_execz .LBB5_7
; %bb.6:
	v_add_co_u32_e32 v6, vcc, 0x1000, v40
	v_addc_co_u32_e32 v7, vcc, 0, v41, vcc
	global_load_dwordx2 v[10:11], v[6:7], off offset:2048
.LBB5_7:
	s_or_b64 exec, exec, s[6:7]
	v_or_b32_e32 v6, 0x400, v0
	v_cmp_gt_i32_e64 s[6:7], s33, v6
	v_ashrrev_i32_e32 v7, 31, v6
                                        ; implicit-def: $vgpr15
	s_and_saveexec_b64 s[8:9], s[6:7]
	s_cbranch_execz .LBB5_9
; %bb.8:
	v_lshlrev_b64 v[12:13], 3, v[6:7]
	v_mov_b32_e32 v14, s25
	v_add_co_u32_e32 v12, vcc, s24, v12
	v_addc_co_u32_e32 v13, vcc, v14, v13, vcc
	global_load_dwordx2 v[14:15], v[12:13], off
.LBB5_9:
	s_or_b64 exec, exec, s[8:9]
	v_add_u32_e32 v12, 0x500, v0
	v_cmp_gt_i32_e64 s[8:9], s33, v12
                                        ; implicit-def: $vgpr19
	s_and_saveexec_b64 s[10:11], s[8:9]
	s_cbranch_execz .LBB5_11
; %bb.10:
	v_add_co_u32_e32 v12, vcc, 0x2000, v40
	v_addc_co_u32_e32 v13, vcc, 0, v41, vcc
	global_load_dwordx2 v[18:19], v[12:13], off offset:2048
.LBB5_11:
	s_or_b64 exec, exec, s[10:11]
	v_add_u32_e32 v12, 0x600, v0
	v_cmp_gt_i32_e64 s[10:11], s33, v12
                                        ; implicit-def: $vgpr21
	s_and_saveexec_b64 s[12:13], s[10:11]
	s_cbranch_execz .LBB5_13
; %bb.12:
	v_add_co_u32_e32 v12, vcc, 0x3000, v40
	v_addc_co_u32_e32 v13, vcc, 0, v41, vcc
	global_load_dwordx2 v[20:21], v[12:13], off
.LBB5_13:
	s_or_b64 exec, exec, s[12:13]
	v_add_u32_e32 v12, 0x700, v0
	v_cmp_gt_i32_e64 s[12:13], s33, v12
                                        ; implicit-def: $vgpr23
	s_and_saveexec_b64 s[14:15], s[12:13]
	s_cbranch_execz .LBB5_15
; %bb.14:
	v_add_co_u32_e32 v12, vcc, 0x3000, v40
	v_addc_co_u32_e32 v13, vcc, 0, v41, vcc
	global_load_dwordx2 v[22:23], v[12:13], off offset:2048
.LBB5_15:
	s_or_b64 exec, exec, s[14:15]
	v_or_b32_e32 v12, 0x800, v0
	v_cmp_gt_i32_e64 s[14:15], s33, v12
	v_ashrrev_i32_e32 v13, 31, v12
                                        ; implicit-def: $vgpr25
	s_and_saveexec_b64 s[16:17], s[14:15]
	s_cbranch_execz .LBB5_17
; %bb.16:
	v_lshlrev_b64 v[16:17], 3, v[12:13]
	v_mov_b32_e32 v24, s25
	v_add_co_u32_e32 v16, vcc, s24, v16
	v_addc_co_u32_e32 v17, vcc, v24, v17, vcc
	global_load_dwordx2 v[24:25], v[16:17], off
.LBB5_17:
	s_or_b64 exec, exec, s[16:17]
	v_add_u32_e32 v16, 0x900, v0
	v_cmp_gt_i32_e64 s[16:17], s33, v16
                                        ; implicit-def: $vgpr27
	s_and_saveexec_b64 s[18:19], s[16:17]
	s_cbranch_execz .LBB5_19
; %bb.18:
	v_add_co_u32_e32 v16, vcc, 0x4000, v40
	v_addc_co_u32_e32 v17, vcc, 0, v41, vcc
	global_load_dwordx2 v[26:27], v[16:17], off offset:2048
.LBB5_19:
	s_or_b64 exec, exec, s[18:19]
	v_add_u32_e32 v16, 0xa00, v0
	v_cmp_gt_i32_e64 s[18:19], s33, v16
                                        ; implicit-def: $vgpr29
	s_and_saveexec_b64 s[20:21], s[18:19]
	s_cbranch_execz .LBB5_21
; %bb.20:
	v_add_co_u32_e32 v16, vcc, 0x5000, v40
	v_addc_co_u32_e32 v17, vcc, 0, v41, vcc
	global_load_dwordx2 v[28:29], v[16:17], off
.LBB5_21:
	s_or_b64 exec, exec, s[20:21]
	v_add_u32_e32 v16, 0xb00, v0
	v_cmp_gt_i32_e64 s[20:21], s33, v16
                                        ; implicit-def: $vgpr31
	s_and_saveexec_b64 s[22:23], s[20:21]
	s_cbranch_execz .LBB5_23
; %bb.22:
	v_add_co_u32_e32 v16, vcc, 0x5000, v40
	v_addc_co_u32_e32 v17, vcc, 0, v41, vcc
	global_load_dwordx2 v[30:31], v[16:17], off offset:2048
.LBB5_23:
	s_or_b64 exec, exec, s[22:23]
	v_or_b32_e32 v16, 0xc00, v0
	v_cmp_gt_i32_e64 s[22:23], s33, v16
	v_ashrrev_i32_e32 v17, 31, v16
                                        ; implicit-def: $vgpr33
	s_and_saveexec_b64 s[26:27], s[22:23]
	s_cbranch_execz .LBB5_25
; %bb.24:
	v_lshlrev_b64 v[32:33], 3, v[16:17]
	v_mov_b32_e32 v34, s25
	v_add_co_u32_e32 v32, vcc, s24, v32
	v_addc_co_u32_e32 v33, vcc, v34, v33, vcc
	global_load_dwordx2 v[32:33], v[32:33], off
.LBB5_25:
	s_or_b64 exec, exec, s[26:27]
	v_add_u32_e32 v34, 0xd00, v0
	v_cmp_gt_i32_e64 s[24:25], s33, v34
                                        ; implicit-def: $vgpr35
	s_and_saveexec_b64 s[26:27], s[24:25]
	s_cbranch_execz .LBB5_27
; %bb.26:
	v_add_co_u32_e32 v34, vcc, 0x6000, v40
	v_addc_co_u32_e32 v35, vcc, 0, v41, vcc
	global_load_dwordx2 v[34:35], v[34:35], off offset:2048
.LBB5_27:
	s_or_b64 exec, exec, s[26:27]
	s_load_dwordx2 s[36:37], s[4:5], 0x10
	v_add_u32_e32 v36, 0xe00, v0
	v_cmp_gt_i32_e64 s[26:27], s33, v36
                                        ; implicit-def: $vgpr37
	s_and_saveexec_b64 s[28:29], s[26:27]
	s_cbranch_execz .LBB5_29
; %bb.28:
	v_add_co_u32_e32 v36, vcc, 0x7000, v40
	v_addc_co_u32_e32 v37, vcc, 0, v41, vcc
	global_load_dwordx2 v[36:37], v[36:37], off
.LBB5_29:
	s_or_b64 exec, exec, s[28:29]
	s_load_dwordx2 s[34:35], s[4:5], 0x0
	v_add_u32_e32 v38, 0xf00, v0
	v_cmp_gt_i32_e64 s[28:29], s33, v38
                                        ; implicit-def: $vgpr39
	s_and_saveexec_b64 s[4:5], s[28:29]
	s_cbranch_execz .LBB5_31
; %bb.30:
	v_add_co_u32_e32 v38, vcc, 0x7000, v40
	v_addc_co_u32_e32 v39, vcc, 0, v41, vcc
	global_load_dwordx2 v[38:39], v[38:39], off offset:2048
.LBB5_31:
	s_or_b64 exec, exec, s[4:5]
	s_waitcnt lgkmcnt(0)
	s_load_dwordx2 s[42:43], s[36:37], 0x12b8
	v_mov_b32_e32 v55, 0
	v_mov_b32_e32 v54, v55
	;; [unrolled: 1-line block ×16, first 2 shown]
	s_mov_b64 s[38:39], 0
	s_waitcnt lgkmcnt(0)
	s_mov_b32 s40, s42
.LBB5_32:                               ; =>This Inner Loop Header: Depth=1
	s_add_u32 s4, s36, s38
	s_addc_u32 s5, s37, s39
	s_mov_b32 s33, s40
	s_load_dwordx2 s[40:41], s[4:5], 0x0
	s_waitcnt lgkmcnt(0)
	v_mov_b32_e32 v56, s40
	v_mov_b32_e32 v57, s41
	v_sub_f32_e32 v56, s33, v56
	v_sub_f32_e32 v57, s43, v57
	v_div_scale_f32 v58, s[4:5], v57, v57, v56
	v_div_scale_f32 v59, vcc, v56, v57, v56
	s_waitcnt vmcnt(0)
	v_cmp_gt_f32_e64 s[4:5], s41, v3
	v_rcp_f32_e32 v60, v58
	v_fma_f32 v61, -v58, v60, 1.0
	v_fmac_f32_e32 v60, v61, v60
	v_mul_f32_e32 v61, v59, v60
	v_fma_f32 v62, -v58, v61, v59
	v_fmac_f32_e32 v61, v62, v60
	v_fma_f32 v58, -v58, v61, v59
	v_div_fmas_f32 v58, v58, v60, v61
	v_cmp_ngt_f32_e32 vcc, s43, v3
	s_xor_b64 s[4:5], s[4:5], vcc
	s_xor_b64 s[44:45], s[4:5], -1
	v_div_fixup_f32 v56, v58, v57, v56
	s_and_saveexec_b64 s[4:5], s[44:45]
	s_cbranch_execz .LBB5_36
; %bb.33:                               ;   in Loop: Header=BB5_32 Depth=1
	v_subrev_f32_e32 v57, s41, v3
	v_fma_f32 v57, v56, v57, s40
	v_cmp_lt_f32_e32 vcc, v2, v57
	s_and_saveexec_b64 s[44:45], vcc
; %bb.34:                               ;   in Loop: Header=BB5_32 Depth=1
	v_cmp_eq_u32_e32 vcc, 0, v55
	v_cndmask_b32_e64 v55, 0, 1, vcc
; %bb.35:                               ;   in Loop: Header=BB5_32 Depth=1
	s_or_b64 exec, exec, s[44:45]
.LBB5_36:                               ;   in Loop: Header=BB5_32 Depth=1
	s_or_b64 exec, exec, s[4:5]
	v_cmp_gt_f32_e32 vcc, s41, v5
	v_cmp_ngt_f32_e64 s[4:5], s43, v5
	s_xor_b64 s[4:5], vcc, s[4:5]
	s_xor_b64 s[44:45], s[4:5], -1
	s_and_saveexec_b64 s[4:5], s[44:45]
	s_cbranch_execz .LBB5_40
; %bb.37:                               ;   in Loop: Header=BB5_32 Depth=1
	v_subrev_f32_e32 v57, s41, v5
	v_fma_f32 v57, v56, v57, s40
	v_cmp_lt_f32_e32 vcc, v4, v57
	s_and_saveexec_b64 s[44:45], vcc
; %bb.38:                               ;   in Loop: Header=BB5_32 Depth=1
	v_cmp_eq_u32_e32 vcc, 0, v54
	v_cndmask_b32_e64 v54, 0, 1, vcc
; %bb.39:                               ;   in Loop: Header=BB5_32 Depth=1
	s_or_b64 exec, exec, s[44:45]
.LBB5_40:                               ;   in Loop: Header=BB5_32 Depth=1
	s_or_b64 exec, exec, s[4:5]
	v_cmp_gt_f32_e32 vcc, s41, v9
	v_cmp_ngt_f32_e64 s[4:5], s43, v9
	s_xor_b64 s[4:5], vcc, s[4:5]
	s_xor_b64 s[44:45], s[4:5], -1
	;; [unrolled: 18-line block ×15, first 2 shown]
	s_and_saveexec_b64 s[4:5], s[42:43]
	s_cbranch_execz .LBB5_96
; %bb.93:                               ;   in Loop: Header=BB5_32 Depth=1
	v_subrev_f32_e32 v57, s41, v39
	v_fma_f32 v56, v56, v57, s40
	v_cmp_lt_f32_e32 vcc, v38, v56
	s_and_saveexec_b64 s[42:43], vcc
; %bb.94:                               ;   in Loop: Header=BB5_32 Depth=1
	v_cmp_eq_u32_e32 vcc, 0, v40
	v_cndmask_b32_e64 v40, 0, 1, vcc
; %bb.95:                               ;   in Loop: Header=BB5_32 Depth=1
	s_or_b64 exec, exec, s[42:43]
.LBB5_96:                               ;   in Loop: Header=BB5_32 Depth=1
	s_or_b64 exec, exec, s[4:5]
	s_add_u32 s38, s38, 8
	s_addc_u32 s39, s39, 0
	s_cmpk_lg_i32 s38, 0x12c0
	s_cbranch_scc0 .LBB5_98
; %bb.97:                               ;   in Loop: Header=BB5_32 Depth=1
	s_mov_b32 s43, s41
	s_branch .LBB5_32
.LBB5_98:
	v_lshlrev_b64 v[0:1], 2, v[0:1]
	v_mov_b32_e32 v2, s35
	v_add_co_u32_e32 v0, vcc, s34, v0
	v_addc_co_u32_e32 v1, vcc, v2, v1, vcc
	global_store_dword v[0:1], v55, off
	s_and_saveexec_b64 s[4:5], s[0:1]
	s_cbranch_execnz .LBB5_115
; %bb.99:
	s_or_b64 exec, exec, s[4:5]
	s_and_saveexec_b64 s[0:1], s[2:3]
	s_cbranch_execnz .LBB5_116
.LBB5_100:
	s_or_b64 exec, exec, s[0:1]
	s_and_saveexec_b64 s[0:1], s[30:31]
	s_cbranch_execnz .LBB5_117
.LBB5_101:
	s_or_b64 exec, exec, s[0:1]
	s_and_saveexec_b64 s[0:1], s[6:7]
	s_cbranch_execnz .LBB5_118
.LBB5_102:
	s_or_b64 exec, exec, s[0:1]
	s_and_saveexec_b64 s[0:1], s[8:9]
	s_cbranch_execnz .LBB5_119
.LBB5_103:
	s_or_b64 exec, exec, s[0:1]
	s_and_saveexec_b64 s[0:1], s[10:11]
	s_cbranch_execnz .LBB5_120
.LBB5_104:
	s_or_b64 exec, exec, s[0:1]
	s_and_saveexec_b64 s[0:1], s[12:13]
	s_cbranch_execnz .LBB5_121
.LBB5_105:
	s_or_b64 exec, exec, s[0:1]
	s_and_saveexec_b64 s[0:1], s[14:15]
	s_cbranch_execnz .LBB5_122
.LBB5_106:
	s_or_b64 exec, exec, s[0:1]
	s_and_saveexec_b64 s[0:1], s[16:17]
	s_cbranch_execnz .LBB5_123
.LBB5_107:
	s_or_b64 exec, exec, s[0:1]
	s_and_saveexec_b64 s[0:1], s[18:19]
	s_cbranch_execnz .LBB5_124
.LBB5_108:
	s_or_b64 exec, exec, s[0:1]
	s_and_saveexec_b64 s[0:1], s[20:21]
	s_cbranch_execnz .LBB5_125
.LBB5_109:
	s_or_b64 exec, exec, s[0:1]
	s_and_saveexec_b64 s[0:1], s[22:23]
	s_cbranch_execnz .LBB5_126
.LBB5_110:
	s_or_b64 exec, exec, s[0:1]
	s_and_saveexec_b64 s[0:1], s[24:25]
	s_cbranch_execnz .LBB5_127
.LBB5_111:
	s_or_b64 exec, exec, s[0:1]
	s_and_saveexec_b64 s[0:1], s[26:27]
	s_cbranch_execnz .LBB5_128
.LBB5_112:
	s_or_b64 exec, exec, s[0:1]
	s_and_b64 exec, exec, s[28:29]
	s_cbranch_execz .LBB5_114
.LBB5_113:
	v_add_co_u32_e32 v0, vcc, 0x3000, v0
	v_addc_co_u32_e32 v1, vcc, 0, v1, vcc
	global_store_dword v[0:1], v40, off offset:3072
.LBB5_114:
	s_endpgm
.LBB5_115:
	global_store_dword v[0:1], v54, off offset:1024
	s_or_b64 exec, exec, s[4:5]
	s_and_saveexec_b64 s[0:1], s[2:3]
	s_cbranch_execz .LBB5_100
.LBB5_116:
	global_store_dword v[0:1], v53, off offset:2048
	s_or_b64 exec, exec, s[0:1]
	s_and_saveexec_b64 s[0:1], s[30:31]
	s_cbranch_execz .LBB5_101
.LBB5_117:
	global_store_dword v[0:1], v52, off offset:3072
	s_or_b64 exec, exec, s[0:1]
	s_and_saveexec_b64 s[0:1], s[6:7]
	s_cbranch_execz .LBB5_102
.LBB5_118:
	v_lshlrev_b64 v[2:3], 2, v[6:7]
	v_mov_b32_e32 v4, s35
	v_add_co_u32_e32 v2, vcc, s34, v2
	v_addc_co_u32_e32 v3, vcc, v4, v3, vcc
	global_store_dword v[2:3], v51, off
	s_or_b64 exec, exec, s[0:1]
	s_and_saveexec_b64 s[0:1], s[8:9]
	s_cbranch_execz .LBB5_103
.LBB5_119:
	v_add_co_u32_e32 v2, vcc, 0x1000, v0
	v_addc_co_u32_e32 v3, vcc, 0, v1, vcc
	global_store_dword v[2:3], v50, off offset:1024
	s_or_b64 exec, exec, s[0:1]
	s_and_saveexec_b64 s[0:1], s[10:11]
	s_cbranch_execz .LBB5_104
.LBB5_120:
	v_add_co_u32_e32 v2, vcc, 0x1000, v0
	v_addc_co_u32_e32 v3, vcc, 0, v1, vcc
	global_store_dword v[2:3], v49, off offset:2048
	s_or_b64 exec, exec, s[0:1]
	s_and_saveexec_b64 s[0:1], s[12:13]
	s_cbranch_execz .LBB5_105
.LBB5_121:
	v_add_co_u32_e32 v2, vcc, 0x1000, v0
	v_addc_co_u32_e32 v3, vcc, 0, v1, vcc
	global_store_dword v[2:3], v48, off offset:3072
	s_or_b64 exec, exec, s[0:1]
	s_and_saveexec_b64 s[0:1], s[14:15]
	s_cbranch_execz .LBB5_106
.LBB5_122:
	v_lshlrev_b64 v[2:3], 2, v[12:13]
	v_mov_b32_e32 v4, s35
	v_add_co_u32_e32 v2, vcc, s34, v2
	v_addc_co_u32_e32 v3, vcc, v4, v3, vcc
	global_store_dword v[2:3], v47, off
	s_or_b64 exec, exec, s[0:1]
	s_and_saveexec_b64 s[0:1], s[16:17]
	s_cbranch_execz .LBB5_107
.LBB5_123:
	v_add_co_u32_e32 v2, vcc, 0x2000, v0
	v_addc_co_u32_e32 v3, vcc, 0, v1, vcc
	global_store_dword v[2:3], v46, off offset:1024
	s_or_b64 exec, exec, s[0:1]
	s_and_saveexec_b64 s[0:1], s[18:19]
	s_cbranch_execz .LBB5_108
.LBB5_124:
	v_add_co_u32_e32 v2, vcc, 0x2000, v0
	v_addc_co_u32_e32 v3, vcc, 0, v1, vcc
	global_store_dword v[2:3], v45, off offset:2048
	s_or_b64 exec, exec, s[0:1]
	s_and_saveexec_b64 s[0:1], s[20:21]
	s_cbranch_execz .LBB5_109
.LBB5_125:
	v_add_co_u32_e32 v2, vcc, 0x2000, v0
	v_addc_co_u32_e32 v3, vcc, 0, v1, vcc
	global_store_dword v[2:3], v44, off offset:3072
	s_or_b64 exec, exec, s[0:1]
	s_and_saveexec_b64 s[0:1], s[22:23]
	s_cbranch_execz .LBB5_110
.LBB5_126:
	v_lshlrev_b64 v[2:3], 2, v[16:17]
	v_mov_b32_e32 v4, s35
	v_add_co_u32_e32 v2, vcc, s34, v2
	v_addc_co_u32_e32 v3, vcc, v4, v3, vcc
	global_store_dword v[2:3], v43, off
	s_or_b64 exec, exec, s[0:1]
	s_and_saveexec_b64 s[0:1], s[24:25]
	s_cbranch_execz .LBB5_111
.LBB5_127:
	v_add_co_u32_e32 v2, vcc, 0x3000, v0
	v_addc_co_u32_e32 v3, vcc, 0, v1, vcc
	global_store_dword v[2:3], v42, off offset:1024
	s_or_b64 exec, exec, s[0:1]
	s_and_saveexec_b64 s[0:1], s[26:27]
	s_cbranch_execz .LBB5_112
.LBB5_128:
	v_add_co_u32_e32 v2, vcc, 0x3000, v0
	v_addc_co_u32_e32 v3, vcc, 0, v1, vcc
	global_store_dword v[2:3], v41, off offset:2048
	s_or_b64 exec, exec, s[0:1]
	s_and_b64 exec, exec, s[28:29]
	s_cbranch_execnz .LBB5_113
	s_branch .LBB5_114
	.section	.rodata,"a",@progbits
	.p2align	6, 0x0
	.amdhsa_kernel _Z10pnpoly_optILi16EEvPiPK15HIP_vector_typeIfLj2EES4_i
		.amdhsa_group_segment_fixed_size 0
		.amdhsa_private_segment_fixed_size 0
		.amdhsa_kernarg_size 28
		.amdhsa_user_sgpr_count 6
		.amdhsa_user_sgpr_private_segment_buffer 1
		.amdhsa_user_sgpr_dispatch_ptr 0
		.amdhsa_user_sgpr_queue_ptr 0
		.amdhsa_user_sgpr_kernarg_segment_ptr 1
		.amdhsa_user_sgpr_dispatch_id 0
		.amdhsa_user_sgpr_flat_scratch_init 0
		.amdhsa_user_sgpr_private_segment_size 0
		.amdhsa_uses_dynamic_stack 0
		.amdhsa_system_sgpr_private_segment_wavefront_offset 0
		.amdhsa_system_sgpr_workgroup_id_x 1
		.amdhsa_system_sgpr_workgroup_id_y 0
		.amdhsa_system_sgpr_workgroup_id_z 0
		.amdhsa_system_sgpr_workgroup_info 0
		.amdhsa_system_vgpr_workitem_id 0
		.amdhsa_next_free_vgpr 63
		.amdhsa_next_free_sgpr 46
		.amdhsa_reserve_vcc 1
		.amdhsa_reserve_flat_scratch 0
		.amdhsa_float_round_mode_32 0
		.amdhsa_float_round_mode_16_64 0
		.amdhsa_float_denorm_mode_32 3
		.amdhsa_float_denorm_mode_16_64 3
		.amdhsa_dx10_clamp 1
		.amdhsa_ieee_mode 1
		.amdhsa_fp16_overflow 0
		.amdhsa_exception_fp_ieee_invalid_op 0
		.amdhsa_exception_fp_denorm_src 0
		.amdhsa_exception_fp_ieee_div_zero 0
		.amdhsa_exception_fp_ieee_overflow 0
		.amdhsa_exception_fp_ieee_underflow 0
		.amdhsa_exception_fp_ieee_inexact 0
		.amdhsa_exception_int_div_zero 0
	.end_amdhsa_kernel
	.section	.text._Z10pnpoly_optILi16EEvPiPK15HIP_vector_typeIfLj2EES4_i,"axG",@progbits,_Z10pnpoly_optILi16EEvPiPK15HIP_vector_typeIfLj2EES4_i,comdat
.Lfunc_end5:
	.size	_Z10pnpoly_optILi16EEvPiPK15HIP_vector_typeIfLj2EES4_i, .Lfunc_end5-_Z10pnpoly_optILi16EEvPiPK15HIP_vector_typeIfLj2EES4_i
                                        ; -- End function
	.set _Z10pnpoly_optILi16EEvPiPK15HIP_vector_typeIfLj2EES4_i.num_vgpr, 63
	.set _Z10pnpoly_optILi16EEvPiPK15HIP_vector_typeIfLj2EES4_i.num_agpr, 0
	.set _Z10pnpoly_optILi16EEvPiPK15HIP_vector_typeIfLj2EES4_i.numbered_sgpr, 46
	.set _Z10pnpoly_optILi16EEvPiPK15HIP_vector_typeIfLj2EES4_i.num_named_barrier, 0
	.set _Z10pnpoly_optILi16EEvPiPK15HIP_vector_typeIfLj2EES4_i.private_seg_size, 0
	.set _Z10pnpoly_optILi16EEvPiPK15HIP_vector_typeIfLj2EES4_i.uses_vcc, 1
	.set _Z10pnpoly_optILi16EEvPiPK15HIP_vector_typeIfLj2EES4_i.uses_flat_scratch, 0
	.set _Z10pnpoly_optILi16EEvPiPK15HIP_vector_typeIfLj2EES4_i.has_dyn_sized_stack, 0
	.set _Z10pnpoly_optILi16EEvPiPK15HIP_vector_typeIfLj2EES4_i.has_recursion, 0
	.set _Z10pnpoly_optILi16EEvPiPK15HIP_vector_typeIfLj2EES4_i.has_indirect_call, 0
	.section	.AMDGPU.csdata,"",@progbits
; Kernel info:
; codeLenInByte = 2820
; TotalNumSgprs: 50
; NumVgprs: 63
; ScratchSize: 0
; MemoryBound: 0
; FloatMode: 240
; IeeeMode: 1
; LDSByteSize: 0 bytes/workgroup (compile time only)
; SGPRBlocks: 6
; VGPRBlocks: 15
; NumSGPRsForWavesPerEU: 50
; NumVGPRsForWavesPerEU: 63
; Occupancy: 4
; WaveLimiterHint : 0
; COMPUTE_PGM_RSRC2:SCRATCH_EN: 0
; COMPUTE_PGM_RSRC2:USER_SGPR: 6
; COMPUTE_PGM_RSRC2:TRAP_HANDLER: 0
; COMPUTE_PGM_RSRC2:TGID_X_EN: 1
; COMPUTE_PGM_RSRC2:TGID_Y_EN: 0
; COMPUTE_PGM_RSRC2:TGID_Z_EN: 0
; COMPUTE_PGM_RSRC2:TIDIG_COMP_CNT: 0
	.section	.text._Z10pnpoly_optILi32EEvPiPK15HIP_vector_typeIfLj2EES4_i,"axG",@progbits,_Z10pnpoly_optILi32EEvPiPK15HIP_vector_typeIfLj2EES4_i,comdat
	.protected	_Z10pnpoly_optILi32EEvPiPK15HIP_vector_typeIfLj2EES4_i ; -- Begin function _Z10pnpoly_optILi32EEvPiPK15HIP_vector_typeIfLj2EES4_i
	.globl	_Z10pnpoly_optILi32EEvPiPK15HIP_vector_typeIfLj2EES4_i
	.p2align	8
	.type	_Z10pnpoly_optILi32EEvPiPK15HIP_vector_typeIfLj2EES4_i,@function
_Z10pnpoly_optILi32EEvPiPK15HIP_vector_typeIfLj2EES4_i: ; @_Z10pnpoly_optILi32EEvPiPK15HIP_vector_typeIfLj2EES4_i
; %bb.0:
	s_load_dword s33, s[4:5], 0x18
	s_mov_b64 s[82:83], s[2:3]
	s_mov_b64 s[80:81], s[0:1]
	s_add_u32 s80, s80, s7
	v_lshl_or_b32 v8, s6, 13, v0
	s_addc_u32 s81, s81, 0
	s_waitcnt lgkmcnt(0)
	v_cmp_gt_i32_e32 vcc, s33, v8
	s_and_saveexec_b64 s[0:1], vcc
	s_cbranch_execz .LBB6_226
; %bb.1:
	s_load_dwordx2 s[58:59], s[4:5], 0x8
	v_ashrrev_i32_e32 v9, 31, v8
	v_lshlrev_b64 v[0:1], 3, v[8:9]
	s_waitcnt lgkmcnt(0)
	v_mov_b32_e32 v2, s59
	v_add_co_u32_e32 v10, vcc, s58, v0
	v_addc_co_u32_e32 v11, vcc, v2, v1, vcc
	global_load_dwordx2 v[0:1], v[10:11], off
	s_waitcnt vmcnt(0)
	buffer_store_dword v0, off, s[80:83], 0 offset:24 ; 4-byte Folded Spill
	s_nop 0
	buffer_store_dword v1, off, s[80:83], 0 offset:28 ; 4-byte Folded Spill
	v_add_u32_e32 v0, 0x100, v8
	v_cmp_gt_i32_e64 s[0:1], s33, v0
                                        ; implicit-def: $vgpr1
	buffer_store_dword v0, off, s[80:83], 0 ; 4-byte Folded Spill
	s_nop 0
	buffer_store_dword v1, off, s[80:83], 0 offset:4 ; 4-byte Folded Spill
	s_and_saveexec_b64 s[2:3], s[0:1]
	s_cbranch_execz .LBB6_3
; %bb.2:
	global_load_dwordx2 v[0:1], v[10:11], off offset:2048
	s_waitcnt vmcnt(0)
	buffer_store_dword v0, off, s[80:83], 0 ; 4-byte Folded Spill
	s_nop 0
	buffer_store_dword v1, off, s[80:83], 0 offset:4 ; 4-byte Folded Spill
.LBB6_3:
	s_or_b64 exec, exec, s[2:3]
	v_add_u32_e32 v0, 0x200, v8
	v_cmp_gt_i32_e64 s[2:3], s33, v0
                                        ; implicit-def: $vgpr1
	buffer_store_dword v0, off, s[80:83], 0 offset:8 ; 4-byte Folded Spill
	s_nop 0
	buffer_store_dword v1, off, s[80:83], 0 offset:12 ; 4-byte Folded Spill
	s_and_saveexec_b64 s[6:7], s[2:3]
	s_cbranch_execz .LBB6_5
; %bb.4:
	v_add_co_u32_e32 v0, vcc, 0x1000, v10
	v_addc_co_u32_e32 v1, vcc, 0, v11, vcc
	global_load_dwordx2 v[0:1], v[0:1], off
	s_waitcnt vmcnt(0)
	buffer_store_dword v0, off, s[80:83], 0 offset:8 ; 4-byte Folded Spill
	s_nop 0
	buffer_store_dword v1, off, s[80:83], 0 offset:12 ; 4-byte Folded Spill
.LBB6_5:
	s_or_b64 exec, exec, s[6:7]
	v_add_u32_e32 v0, 0x300, v8
	v_cmp_gt_i32_e64 s[64:65], s33, v0
                                        ; implicit-def: $vgpr1
	buffer_store_dword v0, off, s[80:83], 0 offset:16 ; 4-byte Folded Spill
	s_nop 0
	buffer_store_dword v1, off, s[80:83], 0 offset:20 ; 4-byte Folded Spill
	s_and_saveexec_b64 s[6:7], s[64:65]
	s_cbranch_execz .LBB6_7
; %bb.6:
	v_add_co_u32_e32 v0, vcc, 0x1000, v10
	v_addc_co_u32_e32 v1, vcc, 0, v11, vcc
	global_load_dwordx2 v[0:1], v[0:1], off offset:2048
	s_waitcnt vmcnt(0)
	buffer_store_dword v0, off, s[80:83], 0 offset:16 ; 4-byte Folded Spill
	s_nop 0
	buffer_store_dword v1, off, s[80:83], 0 offset:20 ; 4-byte Folded Spill
.LBB6_7:
	s_or_b64 exec, exec, s[6:7]
	v_or_b32_e32 v0, 0x400, v8
	v_cmp_gt_i32_e64 s[6:7], s33, v0
	v_ashrrev_i32_e32 v1, 31, v0
	buffer_store_dword v0, off, s[80:83], 0 offset:168 ; 4-byte Folded Spill
	s_nop 0
	buffer_store_dword v1, off, s[80:83], 0 offset:172 ; 4-byte Folded Spill
                                        ; implicit-def: $vgpr15
	s_and_saveexec_b64 s[8:9], s[6:7]
	s_cbranch_execz .LBB6_9
; %bb.8:
	buffer_load_dword v0, off, s[80:83], 0 offset:168 ; 4-byte Folded Reload
	buffer_load_dword v1, off, s[80:83], 0 offset:172 ; 4-byte Folded Reload
	v_mov_b32_e32 v4, s59
	s_waitcnt vmcnt(0)
	v_lshlrev_b64 v[0:1], 3, v[0:1]
	v_add_co_u32_e32 v0, vcc, s58, v0
	v_addc_co_u32_e32 v1, vcc, v4, v1, vcc
	global_load_dwordx2 v[14:15], v[0:1], off
.LBB6_9:
	s_or_b64 exec, exec, s[8:9]
	v_add_u32_e32 v0, 0x500, v8
	v_cmp_gt_i32_e64 s[8:9], s33, v0
                                        ; implicit-def: $vgpr19
	s_and_saveexec_b64 s[10:11], s[8:9]
	s_cbranch_execz .LBB6_11
; %bb.10:
	v_add_co_u32_e32 v0, vcc, 0x2000, v10
	v_addc_co_u32_e32 v1, vcc, 0, v11, vcc
	global_load_dwordx2 v[18:19], v[0:1], off offset:2048
.LBB6_11:
	s_or_b64 exec, exec, s[10:11]
	v_add_u32_e32 v0, 0x600, v8
	v_cmp_gt_i32_e64 s[10:11], s33, v0
                                        ; implicit-def: $vgpr21
	s_and_saveexec_b64 s[12:13], s[10:11]
	s_cbranch_execz .LBB6_13
; %bb.12:
	v_add_co_u32_e32 v0, vcc, 0x3000, v10
	v_addc_co_u32_e32 v1, vcc, 0, v11, vcc
	global_load_dwordx2 v[20:21], v[0:1], off
.LBB6_13:
	s_or_b64 exec, exec, s[12:13]
	v_add_u32_e32 v0, 0x700, v8
	v_cmp_gt_i32_e64 s[12:13], s33, v0
                                        ; implicit-def: $vgpr25
	s_and_saveexec_b64 s[14:15], s[12:13]
	s_cbranch_execz .LBB6_15
; %bb.14:
	v_add_co_u32_e32 v0, vcc, 0x3000, v10
	v_addc_co_u32_e32 v1, vcc, 0, v11, vcc
	global_load_dwordx2 v[24:25], v[0:1], off offset:2048
.LBB6_15:
	s_or_b64 exec, exec, s[14:15]
	v_or_b32_e32 v0, 0x800, v8
	v_cmp_gt_i32_e64 s[14:15], s33, v0
	v_ashrrev_i32_e32 v1, 31, v0
	buffer_store_dword v0, off, s[80:83], 0 offset:176 ; 4-byte Folded Spill
	s_nop 0
	buffer_store_dword v1, off, s[80:83], 0 offset:180 ; 4-byte Folded Spill
                                        ; implicit-def: $vgpr27
	s_and_saveexec_b64 s[16:17], s[14:15]
	s_cbranch_execz .LBB6_17
; %bb.16:
	buffer_load_dword v0, off, s[80:83], 0 offset:176 ; 4-byte Folded Reload
	buffer_load_dword v1, off, s[80:83], 0 offset:180 ; 4-byte Folded Reload
	v_mov_b32_e32 v4, s59
	s_waitcnt vmcnt(0)
	v_lshlrev_b64 v[0:1], 3, v[0:1]
	v_add_co_u32_e32 v0, vcc, s58, v0
	v_addc_co_u32_e32 v1, vcc, v4, v1, vcc
	global_load_dwordx2 v[26:27], v[0:1], off
.LBB6_17:
	s_or_b64 exec, exec, s[16:17]
	v_add_u32_e32 v0, 0x900, v8
	v_cmp_gt_i32_e64 s[16:17], s33, v0
                                        ; implicit-def: $vgpr31
	s_and_saveexec_b64 s[18:19], s[16:17]
	s_cbranch_execz .LBB6_19
; %bb.18:
	v_add_co_u32_e32 v0, vcc, 0x4000, v10
	v_addc_co_u32_e32 v1, vcc, 0, v11, vcc
	global_load_dwordx2 v[30:31], v[0:1], off offset:2048
.LBB6_19:
	s_or_b64 exec, exec, s[18:19]
	v_add_u32_e32 v0, 0xa00, v8
	v_cmp_gt_i32_e64 s[18:19], s33, v0
                                        ; implicit-def: $vgpr35
	s_and_saveexec_b64 s[20:21], s[18:19]
	s_cbranch_execz .LBB6_21
; %bb.20:
	v_add_co_u32_e32 v0, vcc, 0x5000, v10
	v_addc_co_u32_e32 v1, vcc, 0, v11, vcc
	global_load_dwordx2 v[34:35], v[0:1], off
.LBB6_21:
	s_or_b64 exec, exec, s[20:21]
	v_add_u32_e32 v0, 0xb00, v8
	v_cmp_gt_i32_e64 s[20:21], s33, v0
                                        ; implicit-def: $vgpr37
	s_and_saveexec_b64 s[22:23], s[20:21]
	s_cbranch_execz .LBB6_23
; %bb.22:
	v_add_co_u32_e32 v0, vcc, 0x5000, v10
	v_addc_co_u32_e32 v1, vcc, 0, v11, vcc
	global_load_dwordx2 v[36:37], v[0:1], off offset:2048
.LBB6_23:
	s_or_b64 exec, exec, s[22:23]
	v_or_b32_e32 v0, 0xc00, v8
	v_cmp_gt_i32_e64 s[22:23], s33, v0
	v_ashrrev_i32_e32 v1, 31, v0
	buffer_store_dword v0, off, s[80:83], 0 offset:184 ; 4-byte Folded Spill
	s_nop 0
	buffer_store_dword v1, off, s[80:83], 0 offset:188 ; 4-byte Folded Spill
                                        ; implicit-def: $vgpr41
	s_and_saveexec_b64 s[24:25], s[22:23]
	s_cbranch_execz .LBB6_25
; %bb.24:
	buffer_load_dword v0, off, s[80:83], 0 offset:184 ; 4-byte Folded Reload
	buffer_load_dword v1, off, s[80:83], 0 offset:188 ; 4-byte Folded Reload
	v_mov_b32_e32 v4, s59
	s_waitcnt vmcnt(0)
	v_lshlrev_b64 v[0:1], 3, v[0:1]
	v_add_co_u32_e32 v0, vcc, s58, v0
	v_addc_co_u32_e32 v1, vcc, v4, v1, vcc
	global_load_dwordx2 v[40:41], v[0:1], off
.LBB6_25:
	s_or_b64 exec, exec, s[24:25]
	v_add_u32_e32 v0, 0xd00, v8
	v_cmp_gt_i32_e64 s[24:25], s33, v0
                                        ; implicit-def: $vgpr43
	s_and_saveexec_b64 s[26:27], s[24:25]
	s_cbranch_execz .LBB6_27
; %bb.26:
	v_add_co_u32_e32 v0, vcc, 0x6000, v10
	v_addc_co_u32_e32 v1, vcc, 0, v11, vcc
	global_load_dwordx2 v[42:43], v[0:1], off offset:2048
.LBB6_27:
	s_or_b64 exec, exec, s[26:27]
	v_add_u32_e32 v0, 0xe00, v8
	v_cmp_gt_i32_e64 s[26:27], s33, v0
                                        ; implicit-def: $vgpr45
	s_and_saveexec_b64 s[28:29], s[26:27]
	s_cbranch_execz .LBB6_29
; %bb.28:
	v_add_co_u32_e32 v0, vcc, 0x7000, v10
	v_addc_co_u32_e32 v1, vcc, 0, v11, vcc
	global_load_dwordx2 v[44:45], v[0:1], off
.LBB6_29:
	s_or_b64 exec, exec, s[28:29]
	v_add_u32_e32 v0, 0xf00, v8
	v_cmp_gt_i32_e64 s[28:29], s33, v0
                                        ; implicit-def: $vgpr47
	s_and_saveexec_b64 s[30:31], s[28:29]
	s_cbranch_execz .LBB6_31
; %bb.30:
	v_add_co_u32_e32 v0, vcc, 0x7000, v10
	v_addc_co_u32_e32 v1, vcc, 0, v11, vcc
	global_load_dwordx2 v[46:47], v[0:1], off offset:2048
.LBB6_31:
	s_or_b64 exec, exec, s[30:31]
	v_or_b32_e32 v0, 0x1000, v8
	v_cmp_gt_i32_e64 s[30:31], s33, v0
	v_ashrrev_i32_e32 v1, 31, v0
	buffer_store_dword v0, off, s[80:83], 0 offset:192 ; 4-byte Folded Spill
	s_nop 0
	buffer_store_dword v1, off, s[80:83], 0 offset:196 ; 4-byte Folded Spill
                                        ; implicit-def: $vgpr49
	s_and_saveexec_b64 s[34:35], s[30:31]
	s_cbranch_execz .LBB6_33
; %bb.32:
	buffer_load_dword v0, off, s[80:83], 0 offset:192 ; 4-byte Folded Reload
	buffer_load_dword v1, off, s[80:83], 0 offset:196 ; 4-byte Folded Reload
	v_mov_b32_e32 v4, s59
	s_waitcnt vmcnt(0)
	v_lshlrev_b64 v[0:1], 3, v[0:1]
	v_add_co_u32_e32 v0, vcc, s58, v0
	v_addc_co_u32_e32 v1, vcc, v4, v1, vcc
	global_load_dwordx2 v[48:49], v[0:1], off
.LBB6_33:
	s_or_b64 exec, exec, s[34:35]
	v_add_u32_e32 v0, 0x1100, v8
	v_cmp_gt_i32_e64 s[34:35], s33, v0
                                        ; implicit-def: $vgpr51
	s_and_saveexec_b64 s[36:37], s[34:35]
	s_cbranch_execz .LBB6_35
; %bb.34:
	v_add_co_u32_e32 v0, vcc, 0x8000, v10
	v_addc_co_u32_e32 v1, vcc, 0, v11, vcc
	global_load_dwordx2 v[50:51], v[0:1], off offset:2048
.LBB6_35:
	s_or_b64 exec, exec, s[36:37]
	v_add_u32_e32 v0, 0x1200, v8
	v_cmp_gt_i32_e64 s[36:37], s33, v0
                                        ; implicit-def: $vgpr53
	s_and_saveexec_b64 s[38:39], s[36:37]
	s_cbranch_execz .LBB6_37
; %bb.36:
	v_add_co_u32_e32 v0, vcc, 0x9000, v10
	v_addc_co_u32_e32 v1, vcc, 0, v11, vcc
	global_load_dwordx2 v[52:53], v[0:1], off
.LBB6_37:
	s_or_b64 exec, exec, s[38:39]
	v_add_u32_e32 v0, 0x1300, v8
	v_cmp_gt_i32_e64 s[38:39], s33, v0
                                        ; implicit-def: $vgpr55
	s_and_saveexec_b64 s[40:41], s[38:39]
	s_cbranch_execz .LBB6_39
; %bb.38:
	v_add_co_u32_e32 v0, vcc, 0x9000, v10
	v_addc_co_u32_e32 v1, vcc, 0, v11, vcc
	global_load_dwordx2 v[54:55], v[0:1], off offset:2048
.LBB6_39:
	s_or_b64 exec, exec, s[40:41]
	v_or_b32_e32 v0, 0x1400, v8
	v_cmp_gt_i32_e64 s[40:41], s33, v0
	v_ashrrev_i32_e32 v1, 31, v0
	buffer_store_dword v0, off, s[80:83], 0 offset:200 ; 4-byte Folded Spill
	s_nop 0
	buffer_store_dword v1, off, s[80:83], 0 offset:204 ; 4-byte Folded Spill
                                        ; implicit-def: $vgpr57
	s_and_saveexec_b64 s[42:43], s[40:41]
	s_cbranch_execz .LBB6_41
; %bb.40:
	buffer_load_dword v0, off, s[80:83], 0 offset:200 ; 4-byte Folded Reload
	buffer_load_dword v1, off, s[80:83], 0 offset:204 ; 4-byte Folded Reload
	v_mov_b32_e32 v4, s59
	s_waitcnt vmcnt(0)
	v_lshlrev_b64 v[0:1], 3, v[0:1]
	v_add_co_u32_e32 v0, vcc, s58, v0
	v_addc_co_u32_e32 v1, vcc, v4, v1, vcc
	global_load_dwordx2 v[56:57], v[0:1], off
.LBB6_41:
	s_or_b64 exec, exec, s[42:43]
	v_add_u32_e32 v0, 0x1500, v8
	v_cmp_gt_i32_e64 s[42:43], s33, v0
                                        ; implicit-def: $vgpr59
	s_and_saveexec_b64 s[44:45], s[42:43]
	s_cbranch_execz .LBB6_43
; %bb.42:
	v_add_co_u32_e32 v0, vcc, 0xa000, v10
	v_addc_co_u32_e32 v1, vcc, 0, v11, vcc
	global_load_dwordx2 v[58:59], v[0:1], off offset:2048
.LBB6_43:
	s_or_b64 exec, exec, s[44:45]
	v_add_u32_e32 v0, 0x1600, v8
	v_cmp_gt_i32_e64 s[44:45], s33, v0
                                        ; implicit-def: $vgpr61
	s_and_saveexec_b64 s[46:47], s[44:45]
	s_cbranch_execz .LBB6_45
; %bb.44:
	v_add_co_u32_e32 v0, vcc, 0xb000, v10
	v_addc_co_u32_e32 v1, vcc, 0, v11, vcc
	global_load_dwordx2 v[60:61], v[0:1], off
.LBB6_45:
	s_or_b64 exec, exec, s[46:47]
	v_add_u32_e32 v0, 0x1700, v8
	v_cmp_gt_i32_e64 s[46:47], s33, v0
                                        ; implicit-def: $vgpr63
	s_and_saveexec_b64 s[48:49], s[46:47]
	s_cbranch_execz .LBB6_47
; %bb.46:
	v_add_co_u32_e32 v0, vcc, 0xb000, v10
	v_addc_co_u32_e32 v1, vcc, 0, v11, vcc
	global_load_dwordx2 v[62:63], v[0:1], off offset:2048
.LBB6_47:
	s_or_b64 exec, exec, s[48:49]
	v_or_b32_e32 v0, 0x1800, v8
	v_cmp_gt_i32_e64 s[48:49], s33, v0
	v_ashrrev_i32_e32 v1, 31, v0
	buffer_store_dword v0, off, s[80:83], 0 offset:208 ; 4-byte Folded Spill
	s_nop 0
	buffer_store_dword v1, off, s[80:83], 0 offset:212 ; 4-byte Folded Spill
                                        ; implicit-def: $vgpr7
	s_and_saveexec_b64 s[50:51], s[48:49]
	s_cbranch_execz .LBB6_49
; %bb.48:
	buffer_load_dword v0, off, s[80:83], 0 offset:208 ; 4-byte Folded Reload
	buffer_load_dword v1, off, s[80:83], 0 offset:212 ; 4-byte Folded Reload
	v_mov_b32_e32 v4, s59
	s_waitcnt vmcnt(0)
	v_lshlrev_b64 v[0:1], 3, v[0:1]
	v_add_co_u32_e32 v0, vcc, s58, v0
	v_addc_co_u32_e32 v1, vcc, v4, v1, vcc
	global_load_dwordx2 v[6:7], v[0:1], off
.LBB6_49:
	s_or_b64 exec, exec, s[50:51]
	v_add_u32_e32 v0, 0x1900, v8
	v_cmp_gt_i32_e64 s[50:51], s33, v0
                                        ; implicit-def: $vgpr13
	s_and_saveexec_b64 s[52:53], s[50:51]
	s_cbranch_execz .LBB6_51
; %bb.50:
	v_add_co_u32_e32 v0, vcc, 0xc000, v10
	v_addc_co_u32_e32 v1, vcc, 0, v11, vcc
	global_load_dwordx2 v[12:13], v[0:1], off offset:2048
.LBB6_51:
	s_or_b64 exec, exec, s[52:53]
	v_add_u32_e32 v0, 0x1a00, v8
	v_cmp_gt_i32_e64 s[52:53], s33, v0
                                        ; implicit-def: $vgpr17
	s_and_saveexec_b64 s[54:55], s[52:53]
	s_cbranch_execz .LBB6_53
; %bb.52:
	v_add_co_u32_e32 v0, vcc, 0xd000, v10
	v_addc_co_u32_e32 v1, vcc, 0, v11, vcc
	global_load_dwordx2 v[16:17], v[0:1], off
.LBB6_53:
	s_or_b64 exec, exec, s[54:55]
	v_add_u32_e32 v0, 0x1b00, v8
	v_cmp_gt_i32_e64 s[54:55], s33, v0
                                        ; implicit-def: $vgpr23
	s_and_saveexec_b64 s[56:57], s[54:55]
	s_cbranch_execz .LBB6_55
; %bb.54:
	v_add_co_u32_e32 v0, vcc, 0xd000, v10
	v_addc_co_u32_e32 v1, vcc, 0, v11, vcc
	global_load_dwordx2 v[22:23], v[0:1], off offset:2048
.LBB6_55:
	s_or_b64 exec, exec, s[56:57]
	v_or_b32_e32 v0, 0x1c00, v8
	v_cmp_gt_i32_e64 s[56:57], s33, v0
	v_ashrrev_i32_e32 v1, 31, v0
	buffer_store_dword v0, off, s[80:83], 0 offset:216 ; 4-byte Folded Spill
	s_nop 0
	buffer_store_dword v1, off, s[80:83], 0 offset:220 ; 4-byte Folded Spill
                                        ; implicit-def: $vgpr29
	s_and_saveexec_b64 s[60:61], s[56:57]
	s_cbranch_execz .LBB6_57
; %bb.56:
	buffer_load_dword v0, off, s[80:83], 0 offset:216 ; 4-byte Folded Reload
	buffer_load_dword v1, off, s[80:83], 0 offset:220 ; 4-byte Folded Reload
	v_mov_b32_e32 v4, s59
	s_waitcnt vmcnt(0)
	v_lshlrev_b64 v[0:1], 3, v[0:1]
	v_add_co_u32_e32 v0, vcc, s58, v0
	v_addc_co_u32_e32 v1, vcc, v4, v1, vcc
	global_load_dwordx2 v[28:29], v[0:1], off
.LBB6_57:
	s_or_b64 exec, exec, s[60:61]
	v_add_u32_e32 v0, 0x1d00, v8
	v_cmp_gt_i32_e64 s[58:59], s33, v0
                                        ; implicit-def: $vgpr33
	s_and_saveexec_b64 s[60:61], s[58:59]
	s_cbranch_execz .LBB6_59
; %bb.58:
	v_add_co_u32_e32 v0, vcc, 0xe000, v10
	v_addc_co_u32_e32 v1, vcc, 0, v11, vcc
	global_load_dwordx2 v[32:33], v[0:1], off offset:2048
.LBB6_59:
	s_or_b64 exec, exec, s[60:61]
	s_load_dwordx2 s[68:69], s[4:5], 0x10
	v_add_u32_e32 v0, 0x1e00, v8
	v_cmp_gt_i32_e64 s[60:61], s33, v0
                                        ; implicit-def: $vgpr39
	s_and_saveexec_b64 s[62:63], s[60:61]
	s_cbranch_execz .LBB6_61
; %bb.60:
	v_add_co_u32_e32 v0, vcc, 0xf000, v10
	v_addc_co_u32_e32 v1, vcc, 0, v11, vcc
	global_load_dwordx2 v[38:39], v[0:1], off
.LBB6_61:
	s_or_b64 exec, exec, s[62:63]
	s_load_dwordx2 s[66:67], s[4:5], 0x0
	v_add_u32_e32 v0, 0x1f00, v8
	v_cmp_gt_i32_e64 s[62:63], s33, v0
                                        ; implicit-def: $vgpr1
	s_and_saveexec_b64 s[4:5], s[62:63]
	s_cbranch_execz .LBB6_63
; %bb.62:
	v_add_co_u32_e32 v0, vcc, 0xf000, v10
	v_addc_co_u32_e32 v1, vcc, 0, v11, vcc
	global_load_dwordx2 v[0:1], v[0:1], off offset:2048
.LBB6_63:
	s_or_b64 exec, exec, s[4:5]
	v_mov_b32_e32 v2, 0
	buffer_store_dword v8, off, s[80:83], 0 offset:32 ; 4-byte Folded Spill
	s_nop 0
	buffer_store_dword v9, off, s[80:83], 0 offset:36 ; 4-byte Folded Spill
	buffer_store_dword v2, off, s[80:83], 0 offset:44 ; 4-byte Folded Spill
	v_mov_b32_e32 v2, 0
	buffer_store_dword v2, off, s[80:83], 0 offset:48 ; 4-byte Folded Spill
	v_mov_b32_e32 v2, 0
	;; [unrolled: 2-line block ×25, first 2 shown]
	s_waitcnt lgkmcnt(0)
	s_load_dwordx2 s[74:75], s[68:69], 0x12b8
	buffer_store_dword v2, off, s[80:83], 0 offset:144 ; 4-byte Folded Spill
	v_mov_b32_e32 v2, 0
	buffer_store_dword v2, off, s[80:83], 0 offset:148 ; 4-byte Folded Spill
	v_mov_b32_e32 v2, 0
	;; [unrolled: 2-line block ×5, first 2 shown]
	s_mov_b64 s[70:71], 0
	s_waitcnt lgkmcnt(0)
	s_mov_b32 s72, s74
	buffer_store_dword v2, off, s[80:83], 0 offset:164 ; 4-byte Folded Spill
	v_mov_b32_e32 v2, 0
	buffer_store_dword v2, off, s[80:83], 0 offset:40 ; 4-byte Folded Spill
.LBB6_64:                               ; =>This Inner Loop Header: Depth=1
	s_add_u32 s4, s68, s70
	s_addc_u32 s5, s69, s71
	s_mov_b32 s33, s72
	s_load_dwordx2 s[72:73], s[4:5], 0x0
	s_waitcnt lgkmcnt(0)
	v_mov_b32_e32 v4, s72
	v_mov_b32_e32 v5, s73
	v_sub_f32_e32 v4, s33, v4
	v_sub_f32_e32 v5, s75, v5
	v_div_scale_f32 v2, s[4:5], v5, v5, v4
	v_div_scale_f32 v3, vcc, v4, v5, v4
	v_rcp_f32_e32 v8, v2
	v_fma_f32 v9, -v2, v8, 1.0
	v_fmac_f32_e32 v8, v9, v8
	v_mul_f32_e32 v9, v3, v8
	v_fma_f32 v10, -v2, v9, v3
	v_fmac_f32_e32 v9, v10, v8
	v_fma_f32 v2, -v2, v9, v3
	v_div_fmas_f32 v2, v2, v8, v9
	buffer_load_dword v8, off, s[80:83], 0 offset:24 ; 4-byte Folded Reload
	buffer_load_dword v9, off, s[80:83], 0 offset:28 ; 4-byte Folded Reload
	v_div_fixup_f32 v4, v2, v5, v4
	s_waitcnt vmcnt(0)
	v_cmp_ngt_f32_e32 vcc, s75, v9
	v_cmp_gt_f32_e64 s[4:5], s73, v9
	s_xor_b64 s[4:5], s[4:5], vcc
	s_xor_b64 s[76:77], s[4:5], -1
	s_and_saveexec_b64 s[4:5], s[76:77]
	s_cbranch_execz .LBB6_68
; %bb.65:                               ;   in Loop: Header=BB6_64 Depth=1
	buffer_load_dword v8, off, s[80:83], 0 offset:24 ; 4-byte Folded Reload
	buffer_load_dword v9, off, s[80:83], 0 offset:28 ; 4-byte Folded Reload
	s_waitcnt vmcnt(0)
	v_subrev_f32_e32 v2, s73, v9
	v_fma_f32 v2, v4, v2, s72
	v_cmp_lt_f32_e32 vcc, v8, v2
	s_and_saveexec_b64 s[76:77], vcc
	s_cbranch_execz .LBB6_67
; %bb.66:                               ;   in Loop: Header=BB6_64 Depth=1
	buffer_load_dword v2, off, s[80:83], 0 offset:40 ; 4-byte Folded Reload
	s_waitcnt vmcnt(0)
	v_cmp_eq_u32_e32 vcc, 0, v2
	v_cndmask_b32_e64 v2, 0, 1, vcc
	buffer_store_dword v2, off, s[80:83], 0 offset:40 ; 4-byte Folded Spill
.LBB6_67:                               ;   in Loop: Header=BB6_64 Depth=1
	s_or_b64 exec, exec, s[76:77]
.LBB6_68:                               ;   in Loop: Header=BB6_64 Depth=1
	s_or_b64 exec, exec, s[4:5]
	buffer_load_dword v2, off, s[80:83], 0  ; 4-byte Folded Reload
	buffer_load_dword v3, off, s[80:83], 0 offset:4 ; 4-byte Folded Reload
	s_waitcnt vmcnt(0)
	v_cmp_gt_f32_e32 vcc, s73, v3
	v_cmp_ngt_f32_e64 s[4:5], s75, v3
	s_xor_b64 s[4:5], vcc, s[4:5]
	s_xor_b64 s[76:77], s[4:5], -1
	s_mov_b64 s[4:5], exec
	buffer_load_dword v8, off, s[80:83], 0 offset:32 ; 4-byte Folded Reload
	buffer_load_dword v9, off, s[80:83], 0 offset:36 ; 4-byte Folded Reload
	s_and_b64 s[76:77], s[4:5], s[76:77]
	s_mov_b64 exec, s[76:77]
	s_cbranch_execz .LBB6_72
; %bb.69:                               ;   in Loop: Header=BB6_64 Depth=1
	buffer_load_dword v10, off, s[80:83], 0 ; 4-byte Folded Reload
	buffer_load_dword v11, off, s[80:83], 0 offset:4 ; 4-byte Folded Reload
	s_waitcnt vmcnt(0)
	v_subrev_f32_e32 v2, s73, v11
	v_fma_f32 v2, v4, v2, s72
	v_cmp_lt_f32_e32 vcc, v10, v2
	s_and_saveexec_b64 s[76:77], vcc
	s_cbranch_execz .LBB6_71
; %bb.70:                               ;   in Loop: Header=BB6_64 Depth=1
	buffer_load_dword v2, off, s[80:83], 0 offset:164 ; 4-byte Folded Reload
	s_waitcnt vmcnt(0)
	v_cmp_eq_u32_e32 vcc, 0, v2
	v_cndmask_b32_e64 v2, 0, 1, vcc
	buffer_store_dword v2, off, s[80:83], 0 offset:164 ; 4-byte Folded Spill
.LBB6_71:                               ;   in Loop: Header=BB6_64 Depth=1
	s_or_b64 exec, exec, s[76:77]
.LBB6_72:                               ;   in Loop: Header=BB6_64 Depth=1
	s_or_b64 exec, exec, s[4:5]
	buffer_load_dword v2, off, s[80:83], 0 offset:8 ; 4-byte Folded Reload
	buffer_load_dword v3, off, s[80:83], 0 offset:12 ; 4-byte Folded Reload
	s_waitcnt vmcnt(0)
	v_cmp_gt_f32_e32 vcc, s73, v3
	v_cmp_ngt_f32_e64 s[4:5], s75, v3
	s_xor_b64 s[4:5], vcc, s[4:5]
	s_xor_b64 s[76:77], s[4:5], -1
	s_and_saveexec_b64 s[4:5], s[76:77]
	s_cbranch_execz .LBB6_76
; %bb.73:                               ;   in Loop: Header=BB6_64 Depth=1
	buffer_load_dword v10, off, s[80:83], 0 offset:8 ; 4-byte Folded Reload
	buffer_load_dword v11, off, s[80:83], 0 offset:12 ; 4-byte Folded Reload
	s_waitcnt vmcnt(0)
	v_subrev_f32_e32 v2, s73, v11
	v_fma_f32 v2, v4, v2, s72
	v_cmp_lt_f32_e32 vcc, v10, v2
	s_and_saveexec_b64 s[76:77], vcc
	s_cbranch_execz .LBB6_75
; %bb.74:                               ;   in Loop: Header=BB6_64 Depth=1
	buffer_load_dword v2, off, s[80:83], 0 offset:160 ; 4-byte Folded Reload
	s_waitcnt vmcnt(0)
	v_cmp_eq_u32_e32 vcc, 0, v2
	v_cndmask_b32_e64 v2, 0, 1, vcc
	buffer_store_dword v2, off, s[80:83], 0 offset:160 ; 4-byte Folded Spill
.LBB6_75:                               ;   in Loop: Header=BB6_64 Depth=1
	s_or_b64 exec, exec, s[76:77]
.LBB6_76:                               ;   in Loop: Header=BB6_64 Depth=1
	s_or_b64 exec, exec, s[4:5]
	buffer_load_dword v2, off, s[80:83], 0 offset:16 ; 4-byte Folded Reload
	buffer_load_dword v3, off, s[80:83], 0 offset:20 ; 4-byte Folded Reload
	s_waitcnt vmcnt(0)
	v_cmp_gt_f32_e32 vcc, s73, v3
	v_cmp_ngt_f32_e64 s[4:5], s75, v3
	s_xor_b64 s[4:5], vcc, s[4:5]
	s_xor_b64 s[76:77], s[4:5], -1
	s_and_saveexec_b64 s[4:5], s[76:77]
	s_cbranch_execz .LBB6_80
; %bb.77:                               ;   in Loop: Header=BB6_64 Depth=1
	buffer_load_dword v10, off, s[80:83], 0 offset:16 ; 4-byte Folded Reload
	buffer_load_dword v11, off, s[80:83], 0 offset:20 ; 4-byte Folded Reload
	s_waitcnt vmcnt(0)
	v_subrev_f32_e32 v2, s73, v11
	v_fma_f32 v2, v4, v2, s72
	v_cmp_lt_f32_e32 vcc, v10, v2
	s_and_saveexec_b64 s[76:77], vcc
	s_cbranch_execz .LBB6_79
; %bb.78:                               ;   in Loop: Header=BB6_64 Depth=1
	buffer_load_dword v2, off, s[80:83], 0 offset:156 ; 4-byte Folded Reload
	s_waitcnt vmcnt(0)
	v_cmp_eq_u32_e32 vcc, 0, v2
	v_cndmask_b32_e64 v2, 0, 1, vcc
	buffer_store_dword v2, off, s[80:83], 0 offset:156 ; 4-byte Folded Spill
.LBB6_79:                               ;   in Loop: Header=BB6_64 Depth=1
	s_or_b64 exec, exec, s[76:77]
.LBB6_80:                               ;   in Loop: Header=BB6_64 Depth=1
	s_or_b64 exec, exec, s[4:5]
	v_cmp_gt_f32_e32 vcc, s73, v15
	v_cmp_ngt_f32_e64 s[4:5], s75, v15
	s_xor_b64 s[4:5], vcc, s[4:5]
	s_xor_b64 s[76:77], s[4:5], -1
	s_and_saveexec_b64 s[4:5], s[76:77]
	s_cbranch_execz .LBB6_84
; %bb.81:                               ;   in Loop: Header=BB6_64 Depth=1
	v_subrev_f32_e32 v2, s73, v15
	v_fma_f32 v2, v4, v2, s72
	v_cmp_lt_f32_e32 vcc, v14, v2
	s_and_saveexec_b64 s[76:77], vcc
	s_cbranch_execz .LBB6_83
; %bb.82:                               ;   in Loop: Header=BB6_64 Depth=1
	buffer_load_dword v2, off, s[80:83], 0 offset:152 ; 4-byte Folded Reload
	s_waitcnt vmcnt(0)
	v_cmp_eq_u32_e32 vcc, 0, v2
	v_cndmask_b32_e64 v2, 0, 1, vcc
	buffer_store_dword v2, off, s[80:83], 0 offset:152 ; 4-byte Folded Spill
.LBB6_83:                               ;   in Loop: Header=BB6_64 Depth=1
	s_or_b64 exec, exec, s[76:77]
.LBB6_84:                               ;   in Loop: Header=BB6_64 Depth=1
	s_or_b64 exec, exec, s[4:5]
	v_cmp_gt_f32_e32 vcc, s73, v19
	v_cmp_ngt_f32_e64 s[4:5], s75, v19
	s_xor_b64 s[4:5], vcc, s[4:5]
	s_xor_b64 s[76:77], s[4:5], -1
	s_and_saveexec_b64 s[4:5], s[76:77]
	s_cbranch_execz .LBB6_88
; %bb.85:                               ;   in Loop: Header=BB6_64 Depth=1
	v_subrev_f32_e32 v2, s73, v19
	v_fma_f32 v2, v4, v2, s72
	v_cmp_lt_f32_e32 vcc, v18, v2
	s_and_saveexec_b64 s[76:77], vcc
	s_cbranch_execz .LBB6_87
; %bb.86:                               ;   in Loop: Header=BB6_64 Depth=1
	buffer_load_dword v2, off, s[80:83], 0 offset:148 ; 4-byte Folded Reload
	s_waitcnt vmcnt(0)
	v_cmp_eq_u32_e32 vcc, 0, v2
	v_cndmask_b32_e64 v2, 0, 1, vcc
	buffer_store_dword v2, off, s[80:83], 0 offset:148 ; 4-byte Folded Spill
.LBB6_87:                               ;   in Loop: Header=BB6_64 Depth=1
	s_or_b64 exec, exec, s[76:77]
.LBB6_88:                               ;   in Loop: Header=BB6_64 Depth=1
	;; [unrolled: 22-line block ×4, first 2 shown]
	s_or_b64 exec, exec, s[4:5]
	v_cmp_gt_f32_e32 vcc, s73, v27
	v_cmp_ngt_f32_e64 s[4:5], s75, v27
	s_xor_b64 s[4:5], vcc, s[4:5]
	s_xor_b64 s[76:77], s[4:5], -1
	s_and_saveexec_b64 s[4:5], s[76:77]
	s_cbranch_execz .LBB6_100
; %bb.97:                               ;   in Loop: Header=BB6_64 Depth=1
	v_subrev_f32_e32 v2, s73, v27
	v_fma_f32 v2, v4, v2, s72
	v_cmp_lt_f32_e32 vcc, v26, v2
	s_and_saveexec_b64 s[76:77], vcc
	s_cbranch_execz .LBB6_99
; %bb.98:                               ;   in Loop: Header=BB6_64 Depth=1
	buffer_load_dword v2, off, s[80:83], 0 offset:136 ; 4-byte Folded Reload
	s_waitcnt vmcnt(0)
	v_cmp_eq_u32_e32 vcc, 0, v2
	v_cndmask_b32_e64 v2, 0, 1, vcc
	buffer_store_dword v2, off, s[80:83], 0 offset:136 ; 4-byte Folded Spill
.LBB6_99:                               ;   in Loop: Header=BB6_64 Depth=1
	s_or_b64 exec, exec, s[76:77]
.LBB6_100:                              ;   in Loop: Header=BB6_64 Depth=1
	s_or_b64 exec, exec, s[4:5]
	v_cmp_gt_f32_e32 vcc, s73, v31
	v_cmp_ngt_f32_e64 s[4:5], s75, v31
	s_xor_b64 s[4:5], vcc, s[4:5]
	s_xor_b64 s[76:77], s[4:5], -1
	s_and_saveexec_b64 s[4:5], s[76:77]
	s_cbranch_execz .LBB6_104
; %bb.101:                              ;   in Loop: Header=BB6_64 Depth=1
	v_subrev_f32_e32 v2, s73, v31
	v_fma_f32 v2, v4, v2, s72
	v_cmp_lt_f32_e32 vcc, v30, v2
	s_and_saveexec_b64 s[76:77], vcc
	s_cbranch_execz .LBB6_103
; %bb.102:                              ;   in Loop: Header=BB6_64 Depth=1
	buffer_load_dword v2, off, s[80:83], 0 offset:132 ; 4-byte Folded Reload
	s_waitcnt vmcnt(0)
	v_cmp_eq_u32_e32 vcc, 0, v2
	v_cndmask_b32_e64 v2, 0, 1, vcc
	buffer_store_dword v2, off, s[80:83], 0 offset:132 ; 4-byte Folded Spill
.LBB6_103:                              ;   in Loop: Header=BB6_64 Depth=1
	s_or_b64 exec, exec, s[76:77]
.LBB6_104:                              ;   in Loop: Header=BB6_64 Depth=1
	s_or_b64 exec, exec, s[4:5]
	v_cmp_gt_f32_e32 vcc, s73, v35
	v_cmp_ngt_f32_e64 s[4:5], s75, v35
	s_xor_b64 s[4:5], vcc, s[4:5]
	s_xor_b64 s[76:77], s[4:5], -1
	s_and_saveexec_b64 s[4:5], s[76:77]
	s_cbranch_execz .LBB6_108
; %bb.105:                              ;   in Loop: Header=BB6_64 Depth=1
	v_subrev_f32_e32 v2, s73, v35
	v_fma_f32 v2, v4, v2, s72
	v_cmp_lt_f32_e32 vcc, v34, v2
	s_and_saveexec_b64 s[76:77], vcc
	s_cbranch_execz .LBB6_107
; %bb.106:                              ;   in Loop: Header=BB6_64 Depth=1
	buffer_load_dword v2, off, s[80:83], 0 offset:128 ; 4-byte Folded Reload
	s_waitcnt vmcnt(0)
	v_cmp_eq_u32_e32 vcc, 0, v2
	v_cndmask_b32_e64 v2, 0, 1, vcc
	buffer_store_dword v2, off, s[80:83], 0 offset:128 ; 4-byte Folded Spill
.LBB6_107:                              ;   in Loop: Header=BB6_64 Depth=1
	s_or_b64 exec, exec, s[76:77]
.LBB6_108:                              ;   in Loop: Header=BB6_64 Depth=1
	;; [unrolled: 22-line block ×23, first 2 shown]
	s_or_b64 exec, exec, s[4:5]
	s_add_u32 s70, s70, 8
	s_addc_u32 s71, s71, 0
	s_cmpk_lg_i32 s70, 0x12c0
	s_cbranch_scc0 .LBB6_194
; %bb.193:                              ;   in Loop: Header=BB6_64 Depth=1
	s_mov_b32 s75, s73
	s_branch .LBB6_64
.LBB6_194:
	v_lshlrev_b64 v[0:1], 2, v[8:9]
	v_mov_b32_e32 v2, s67
	v_add_co_u32_e32 v0, vcc, s66, v0
	v_addc_co_u32_e32 v1, vcc, v2, v1, vcc
	buffer_load_dword v2, off, s[80:83], 0 offset:40 ; 4-byte Folded Reload
	s_waitcnt vmcnt(0)
	global_store_dword v[0:1], v2, off
	s_and_saveexec_b64 s[4:5], s[0:1]
	s_cbranch_execnz .LBB6_227
; %bb.195:
	s_or_b64 exec, exec, s[4:5]
	s_and_saveexec_b64 s[0:1], s[2:3]
	s_cbranch_execnz .LBB6_228
.LBB6_196:
	s_or_b64 exec, exec, s[0:1]
	s_and_saveexec_b64 s[0:1], s[64:65]
	s_cbranch_execnz .LBB6_229
.LBB6_197:
	s_or_b64 exec, exec, s[0:1]
	s_and_saveexec_b64 s[0:1], s[6:7]
	s_cbranch_execnz .LBB6_230
.LBB6_198:
	s_or_b64 exec, exec, s[0:1]
	s_and_saveexec_b64 s[0:1], s[8:9]
	s_cbranch_execnz .LBB6_231
.LBB6_199:
	s_or_b64 exec, exec, s[0:1]
	s_and_saveexec_b64 s[0:1], s[10:11]
	s_cbranch_execnz .LBB6_232
.LBB6_200:
	s_or_b64 exec, exec, s[0:1]
	s_and_saveexec_b64 s[0:1], s[12:13]
	s_cbranch_execnz .LBB6_233
.LBB6_201:
	s_or_b64 exec, exec, s[0:1]
	s_and_saveexec_b64 s[0:1], s[14:15]
	s_cbranch_execnz .LBB6_234
.LBB6_202:
	s_or_b64 exec, exec, s[0:1]
	s_and_saveexec_b64 s[0:1], s[16:17]
	s_cbranch_execnz .LBB6_235
.LBB6_203:
	s_or_b64 exec, exec, s[0:1]
	s_and_saveexec_b64 s[0:1], s[18:19]
	s_cbranch_execnz .LBB6_236
.LBB6_204:
	s_or_b64 exec, exec, s[0:1]
	s_and_saveexec_b64 s[0:1], s[20:21]
	s_cbranch_execnz .LBB6_237
.LBB6_205:
	s_or_b64 exec, exec, s[0:1]
	s_and_saveexec_b64 s[0:1], s[22:23]
	s_cbranch_execnz .LBB6_238
.LBB6_206:
	s_or_b64 exec, exec, s[0:1]
	s_and_saveexec_b64 s[0:1], s[24:25]
	s_cbranch_execnz .LBB6_239
.LBB6_207:
	s_or_b64 exec, exec, s[0:1]
	s_and_saveexec_b64 s[0:1], s[26:27]
	s_cbranch_execnz .LBB6_240
.LBB6_208:
	s_or_b64 exec, exec, s[0:1]
	s_and_saveexec_b64 s[0:1], s[28:29]
	s_cbranch_execnz .LBB6_241
.LBB6_209:
	s_or_b64 exec, exec, s[0:1]
	s_and_saveexec_b64 s[0:1], s[30:31]
	s_cbranch_execnz .LBB6_242
.LBB6_210:
	s_or_b64 exec, exec, s[0:1]
	s_and_saveexec_b64 s[0:1], s[34:35]
	s_cbranch_execnz .LBB6_243
.LBB6_211:
	s_or_b64 exec, exec, s[0:1]
	s_and_saveexec_b64 s[0:1], s[36:37]
	s_cbranch_execnz .LBB6_244
.LBB6_212:
	s_or_b64 exec, exec, s[0:1]
	s_and_saveexec_b64 s[0:1], s[38:39]
	s_cbranch_execnz .LBB6_245
.LBB6_213:
	s_or_b64 exec, exec, s[0:1]
	s_and_saveexec_b64 s[0:1], s[40:41]
	s_cbranch_execnz .LBB6_246
.LBB6_214:
	s_or_b64 exec, exec, s[0:1]
	s_and_saveexec_b64 s[0:1], s[42:43]
	s_cbranch_execnz .LBB6_247
.LBB6_215:
	s_or_b64 exec, exec, s[0:1]
	s_and_saveexec_b64 s[0:1], s[44:45]
	s_cbranch_execnz .LBB6_248
.LBB6_216:
	s_or_b64 exec, exec, s[0:1]
	s_and_saveexec_b64 s[0:1], s[46:47]
	s_cbranch_execnz .LBB6_249
.LBB6_217:
	s_or_b64 exec, exec, s[0:1]
	s_and_saveexec_b64 s[0:1], s[48:49]
	s_cbranch_execnz .LBB6_250
.LBB6_218:
	s_or_b64 exec, exec, s[0:1]
	s_and_saveexec_b64 s[0:1], s[50:51]
	s_cbranch_execnz .LBB6_251
.LBB6_219:
	s_or_b64 exec, exec, s[0:1]
	s_and_saveexec_b64 s[0:1], s[52:53]
	s_cbranch_execnz .LBB6_252
.LBB6_220:
	s_or_b64 exec, exec, s[0:1]
	s_and_saveexec_b64 s[0:1], s[54:55]
	s_cbranch_execnz .LBB6_253
.LBB6_221:
	s_or_b64 exec, exec, s[0:1]
	s_and_saveexec_b64 s[0:1], s[56:57]
	s_cbranch_execnz .LBB6_254
.LBB6_222:
	s_or_b64 exec, exec, s[0:1]
	s_and_saveexec_b64 s[0:1], s[58:59]
	s_cbranch_execnz .LBB6_255
.LBB6_223:
	s_or_b64 exec, exec, s[0:1]
	s_and_saveexec_b64 s[0:1], s[60:61]
	s_cbranch_execnz .LBB6_256
.LBB6_224:
	s_or_b64 exec, exec, s[0:1]
	s_and_b64 exec, exec, s[62:63]
	s_cbranch_execz .LBB6_226
.LBB6_225:
	buffer_load_dword v2, off, s[80:83], 0 offset:44 ; 4-byte Folded Reload
	v_add_co_u32_e32 v0, vcc, 0x7000, v0
	v_addc_co_u32_e32 v1, vcc, 0, v1, vcc
	s_waitcnt vmcnt(0)
	global_store_dword v[0:1], v2, off offset:3072
.LBB6_226:
	s_endpgm
.LBB6_227:
	buffer_load_dword v2, off, s[80:83], 0 offset:164 ; 4-byte Folded Reload
	s_waitcnt vmcnt(0)
	global_store_dword v[0:1], v2, off offset:1024
	s_or_b64 exec, exec, s[4:5]
	s_and_saveexec_b64 s[0:1], s[2:3]
	s_cbranch_execz .LBB6_196
.LBB6_228:
	buffer_load_dword v2, off, s[80:83], 0 offset:160 ; 4-byte Folded Reload
	s_waitcnt vmcnt(0)
	global_store_dword v[0:1], v2, off offset:2048
	s_or_b64 exec, exec, s[0:1]
	s_and_saveexec_b64 s[0:1], s[64:65]
	s_cbranch_execz .LBB6_197
.LBB6_229:
	buffer_load_dword v2, off, s[80:83], 0 offset:156 ; 4-byte Folded Reload
	s_waitcnt vmcnt(0)
	global_store_dword v[0:1], v2, off offset:3072
	s_or_b64 exec, exec, s[0:1]
	s_and_saveexec_b64 s[0:1], s[6:7]
	s_cbranch_execz .LBB6_198
.LBB6_230:
	buffer_load_dword v2, off, s[80:83], 0 offset:168 ; 4-byte Folded Reload
	buffer_load_dword v3, off, s[80:83], 0 offset:172 ; 4-byte Folded Reload
	v_mov_b32_e32 v4, s67
	s_waitcnt vmcnt(0)
	v_lshlrev_b64 v[2:3], 2, v[2:3]
	v_add_co_u32_e32 v2, vcc, s66, v2
	v_addc_co_u32_e32 v3, vcc, v4, v3, vcc
	buffer_load_dword v4, off, s[80:83], 0 offset:152 ; 4-byte Folded Reload
	s_waitcnt vmcnt(0)
	global_store_dword v[2:3], v4, off
	s_or_b64 exec, exec, s[0:1]
	s_and_saveexec_b64 s[0:1], s[8:9]
	s_cbranch_execz .LBB6_199
.LBB6_231:
	buffer_load_dword v4, off, s[80:83], 0 offset:148 ; 4-byte Folded Reload
	v_add_co_u32_e32 v2, vcc, 0x1000, v0
	v_addc_co_u32_e32 v3, vcc, 0, v1, vcc
	s_waitcnt vmcnt(0)
	global_store_dword v[2:3], v4, off offset:1024
	s_or_b64 exec, exec, s[0:1]
	s_and_saveexec_b64 s[0:1], s[10:11]
	s_cbranch_execz .LBB6_200
.LBB6_232:
	buffer_load_dword v4, off, s[80:83], 0 offset:144 ; 4-byte Folded Reload
	v_add_co_u32_e32 v2, vcc, 0x1000, v0
	v_addc_co_u32_e32 v3, vcc, 0, v1, vcc
	s_waitcnt vmcnt(0)
	global_store_dword v[2:3], v4, off offset:2048
	s_or_b64 exec, exec, s[0:1]
	s_and_saveexec_b64 s[0:1], s[12:13]
	s_cbranch_execz .LBB6_201
.LBB6_233:
	buffer_load_dword v4, off, s[80:83], 0 offset:140 ; 4-byte Folded Reload
	v_add_co_u32_e32 v2, vcc, 0x1000, v0
	v_addc_co_u32_e32 v3, vcc, 0, v1, vcc
	s_waitcnt vmcnt(0)
	global_store_dword v[2:3], v4, off offset:3072
	s_or_b64 exec, exec, s[0:1]
	s_and_saveexec_b64 s[0:1], s[14:15]
	s_cbranch_execz .LBB6_202
.LBB6_234:
	buffer_load_dword v2, off, s[80:83], 0 offset:176 ; 4-byte Folded Reload
	buffer_load_dword v3, off, s[80:83], 0 offset:180 ; 4-byte Folded Reload
	v_mov_b32_e32 v4, s67
	s_waitcnt vmcnt(0)
	v_lshlrev_b64 v[2:3], 2, v[2:3]
	v_add_co_u32_e32 v2, vcc, s66, v2
	v_addc_co_u32_e32 v3, vcc, v4, v3, vcc
	buffer_load_dword v4, off, s[80:83], 0 offset:136 ; 4-byte Folded Reload
	s_waitcnt vmcnt(0)
	global_store_dword v[2:3], v4, off
	s_or_b64 exec, exec, s[0:1]
	s_and_saveexec_b64 s[0:1], s[16:17]
	s_cbranch_execz .LBB6_203
.LBB6_235:
	buffer_load_dword v4, off, s[80:83], 0 offset:132 ; 4-byte Folded Reload
	v_add_co_u32_e32 v2, vcc, 0x2000, v0
	v_addc_co_u32_e32 v3, vcc, 0, v1, vcc
	s_waitcnt vmcnt(0)
	global_store_dword v[2:3], v4, off offset:1024
	s_or_b64 exec, exec, s[0:1]
	s_and_saveexec_b64 s[0:1], s[18:19]
	s_cbranch_execz .LBB6_204
.LBB6_236:
	buffer_load_dword v4, off, s[80:83], 0 offset:128 ; 4-byte Folded Reload
	v_add_co_u32_e32 v2, vcc, 0x2000, v0
	v_addc_co_u32_e32 v3, vcc, 0, v1, vcc
	s_waitcnt vmcnt(0)
	global_store_dword v[2:3], v4, off offset:2048
	s_or_b64 exec, exec, s[0:1]
	s_and_saveexec_b64 s[0:1], s[20:21]
	s_cbranch_execz .LBB6_205
.LBB6_237:
	buffer_load_dword v4, off, s[80:83], 0 offset:124 ; 4-byte Folded Reload
	v_add_co_u32_e32 v2, vcc, 0x2000, v0
	v_addc_co_u32_e32 v3, vcc, 0, v1, vcc
	s_waitcnt vmcnt(0)
	global_store_dword v[2:3], v4, off offset:3072
	s_or_b64 exec, exec, s[0:1]
	s_and_saveexec_b64 s[0:1], s[22:23]
	s_cbranch_execz .LBB6_206
.LBB6_238:
	buffer_load_dword v2, off, s[80:83], 0 offset:184 ; 4-byte Folded Reload
	buffer_load_dword v3, off, s[80:83], 0 offset:188 ; 4-byte Folded Reload
	v_mov_b32_e32 v4, s67
	s_waitcnt vmcnt(0)
	v_lshlrev_b64 v[2:3], 2, v[2:3]
	v_add_co_u32_e32 v2, vcc, s66, v2
	v_addc_co_u32_e32 v3, vcc, v4, v3, vcc
	buffer_load_dword v4, off, s[80:83], 0 offset:120 ; 4-byte Folded Reload
	s_waitcnt vmcnt(0)
	global_store_dword v[2:3], v4, off
	s_or_b64 exec, exec, s[0:1]
	s_and_saveexec_b64 s[0:1], s[24:25]
	s_cbranch_execz .LBB6_207
.LBB6_239:
	buffer_load_dword v4, off, s[80:83], 0 offset:116 ; 4-byte Folded Reload
	v_add_co_u32_e32 v2, vcc, 0x3000, v0
	v_addc_co_u32_e32 v3, vcc, 0, v1, vcc
	s_waitcnt vmcnt(0)
	global_store_dword v[2:3], v4, off offset:1024
	s_or_b64 exec, exec, s[0:1]
	s_and_saveexec_b64 s[0:1], s[26:27]
	s_cbranch_execz .LBB6_208
.LBB6_240:
	buffer_load_dword v4, off, s[80:83], 0 offset:112 ; 4-byte Folded Reload
	v_add_co_u32_e32 v2, vcc, 0x3000, v0
	v_addc_co_u32_e32 v3, vcc, 0, v1, vcc
	s_waitcnt vmcnt(0)
	global_store_dword v[2:3], v4, off offset:2048
	s_or_b64 exec, exec, s[0:1]
	s_and_saveexec_b64 s[0:1], s[28:29]
	s_cbranch_execz .LBB6_209
.LBB6_241:
	buffer_load_dword v4, off, s[80:83], 0 offset:108 ; 4-byte Folded Reload
	v_add_co_u32_e32 v2, vcc, 0x3000, v0
	v_addc_co_u32_e32 v3, vcc, 0, v1, vcc
	s_waitcnt vmcnt(0)
	global_store_dword v[2:3], v4, off offset:3072
	s_or_b64 exec, exec, s[0:1]
	s_and_saveexec_b64 s[0:1], s[30:31]
	s_cbranch_execz .LBB6_210
.LBB6_242:
	buffer_load_dword v2, off, s[80:83], 0 offset:192 ; 4-byte Folded Reload
	buffer_load_dword v3, off, s[80:83], 0 offset:196 ; 4-byte Folded Reload
	v_mov_b32_e32 v4, s67
	s_waitcnt vmcnt(0)
	v_lshlrev_b64 v[2:3], 2, v[2:3]
	v_add_co_u32_e32 v2, vcc, s66, v2
	v_addc_co_u32_e32 v3, vcc, v4, v3, vcc
	buffer_load_dword v4, off, s[80:83], 0 offset:104 ; 4-byte Folded Reload
	s_waitcnt vmcnt(0)
	global_store_dword v[2:3], v4, off
	s_or_b64 exec, exec, s[0:1]
	s_and_saveexec_b64 s[0:1], s[34:35]
	s_cbranch_execz .LBB6_211
.LBB6_243:
	buffer_load_dword v4, off, s[80:83], 0 offset:100 ; 4-byte Folded Reload
	v_add_co_u32_e32 v2, vcc, 0x4000, v0
	v_addc_co_u32_e32 v3, vcc, 0, v1, vcc
	s_waitcnt vmcnt(0)
	global_store_dword v[2:3], v4, off offset:1024
	s_or_b64 exec, exec, s[0:1]
	s_and_saveexec_b64 s[0:1], s[36:37]
	s_cbranch_execz .LBB6_212
.LBB6_244:
	buffer_load_dword v4, off, s[80:83], 0 offset:96 ; 4-byte Folded Reload
	v_add_co_u32_e32 v2, vcc, 0x4000, v0
	v_addc_co_u32_e32 v3, vcc, 0, v1, vcc
	s_waitcnt vmcnt(0)
	global_store_dword v[2:3], v4, off offset:2048
	s_or_b64 exec, exec, s[0:1]
	s_and_saveexec_b64 s[0:1], s[38:39]
	s_cbranch_execz .LBB6_213
.LBB6_245:
	buffer_load_dword v4, off, s[80:83], 0 offset:92 ; 4-byte Folded Reload
	v_add_co_u32_e32 v2, vcc, 0x4000, v0
	v_addc_co_u32_e32 v3, vcc, 0, v1, vcc
	s_waitcnt vmcnt(0)
	global_store_dword v[2:3], v4, off offset:3072
	s_or_b64 exec, exec, s[0:1]
	s_and_saveexec_b64 s[0:1], s[40:41]
	s_cbranch_execz .LBB6_214
.LBB6_246:
	buffer_load_dword v2, off, s[80:83], 0 offset:200 ; 4-byte Folded Reload
	buffer_load_dword v3, off, s[80:83], 0 offset:204 ; 4-byte Folded Reload
	v_mov_b32_e32 v4, s67
	s_waitcnt vmcnt(0)
	v_lshlrev_b64 v[2:3], 2, v[2:3]
	v_add_co_u32_e32 v2, vcc, s66, v2
	v_addc_co_u32_e32 v3, vcc, v4, v3, vcc
	buffer_load_dword v4, off, s[80:83], 0 offset:88 ; 4-byte Folded Reload
	s_waitcnt vmcnt(0)
	global_store_dword v[2:3], v4, off
	s_or_b64 exec, exec, s[0:1]
	s_and_saveexec_b64 s[0:1], s[42:43]
	s_cbranch_execz .LBB6_215
.LBB6_247:
	buffer_load_dword v4, off, s[80:83], 0 offset:84 ; 4-byte Folded Reload
	v_add_co_u32_e32 v2, vcc, 0x5000, v0
	v_addc_co_u32_e32 v3, vcc, 0, v1, vcc
	s_waitcnt vmcnt(0)
	global_store_dword v[2:3], v4, off offset:1024
	s_or_b64 exec, exec, s[0:1]
	s_and_saveexec_b64 s[0:1], s[44:45]
	s_cbranch_execz .LBB6_216
.LBB6_248:
	buffer_load_dword v4, off, s[80:83], 0 offset:80 ; 4-byte Folded Reload
	v_add_co_u32_e32 v2, vcc, 0x5000, v0
	v_addc_co_u32_e32 v3, vcc, 0, v1, vcc
	s_waitcnt vmcnt(0)
	global_store_dword v[2:3], v4, off offset:2048
	s_or_b64 exec, exec, s[0:1]
	s_and_saveexec_b64 s[0:1], s[46:47]
	s_cbranch_execz .LBB6_217
.LBB6_249:
	buffer_load_dword v4, off, s[80:83], 0 offset:76 ; 4-byte Folded Reload
	v_add_co_u32_e32 v2, vcc, 0x5000, v0
	v_addc_co_u32_e32 v3, vcc, 0, v1, vcc
	s_waitcnt vmcnt(0)
	global_store_dword v[2:3], v4, off offset:3072
	s_or_b64 exec, exec, s[0:1]
	s_and_saveexec_b64 s[0:1], s[48:49]
	s_cbranch_execz .LBB6_218
.LBB6_250:
	buffer_load_dword v2, off, s[80:83], 0 offset:208 ; 4-byte Folded Reload
	buffer_load_dword v3, off, s[80:83], 0 offset:212 ; 4-byte Folded Reload
	v_mov_b32_e32 v4, s67
	s_waitcnt vmcnt(0)
	v_lshlrev_b64 v[2:3], 2, v[2:3]
	v_add_co_u32_e32 v2, vcc, s66, v2
	v_addc_co_u32_e32 v3, vcc, v4, v3, vcc
	buffer_load_dword v4, off, s[80:83], 0 offset:72 ; 4-byte Folded Reload
	s_waitcnt vmcnt(0)
	global_store_dword v[2:3], v4, off
	s_or_b64 exec, exec, s[0:1]
	s_and_saveexec_b64 s[0:1], s[50:51]
	s_cbranch_execz .LBB6_219
.LBB6_251:
	buffer_load_dword v4, off, s[80:83], 0 offset:68 ; 4-byte Folded Reload
	v_add_co_u32_e32 v2, vcc, 0x6000, v0
	v_addc_co_u32_e32 v3, vcc, 0, v1, vcc
	s_waitcnt vmcnt(0)
	global_store_dword v[2:3], v4, off offset:1024
	s_or_b64 exec, exec, s[0:1]
	s_and_saveexec_b64 s[0:1], s[52:53]
	s_cbranch_execz .LBB6_220
.LBB6_252:
	buffer_load_dword v4, off, s[80:83], 0 offset:64 ; 4-byte Folded Reload
	v_add_co_u32_e32 v2, vcc, 0x6000, v0
	v_addc_co_u32_e32 v3, vcc, 0, v1, vcc
	s_waitcnt vmcnt(0)
	global_store_dword v[2:3], v4, off offset:2048
	s_or_b64 exec, exec, s[0:1]
	s_and_saveexec_b64 s[0:1], s[54:55]
	s_cbranch_execz .LBB6_221
.LBB6_253:
	buffer_load_dword v4, off, s[80:83], 0 offset:60 ; 4-byte Folded Reload
	v_add_co_u32_e32 v2, vcc, 0x6000, v0
	v_addc_co_u32_e32 v3, vcc, 0, v1, vcc
	s_waitcnt vmcnt(0)
	global_store_dword v[2:3], v4, off offset:3072
	s_or_b64 exec, exec, s[0:1]
	s_and_saveexec_b64 s[0:1], s[56:57]
	s_cbranch_execz .LBB6_222
.LBB6_254:
	buffer_load_dword v2, off, s[80:83], 0 offset:216 ; 4-byte Folded Reload
	buffer_load_dword v3, off, s[80:83], 0 offset:220 ; 4-byte Folded Reload
	v_mov_b32_e32 v4, s67
	s_waitcnt vmcnt(0)
	v_lshlrev_b64 v[2:3], 2, v[2:3]
	v_add_co_u32_e32 v2, vcc, s66, v2
	v_addc_co_u32_e32 v3, vcc, v4, v3, vcc
	buffer_load_dword v4, off, s[80:83], 0 offset:56 ; 4-byte Folded Reload
	s_waitcnt vmcnt(0)
	global_store_dword v[2:3], v4, off
	s_or_b64 exec, exec, s[0:1]
	s_and_saveexec_b64 s[0:1], s[58:59]
	s_cbranch_execz .LBB6_223
.LBB6_255:
	buffer_load_dword v4, off, s[80:83], 0 offset:52 ; 4-byte Folded Reload
	v_add_co_u32_e32 v2, vcc, 0x7000, v0
	v_addc_co_u32_e32 v3, vcc, 0, v1, vcc
	s_waitcnt vmcnt(0)
	global_store_dword v[2:3], v4, off offset:1024
	s_or_b64 exec, exec, s[0:1]
	s_and_saveexec_b64 s[0:1], s[60:61]
	s_cbranch_execz .LBB6_224
.LBB6_256:
	buffer_load_dword v4, off, s[80:83], 0 offset:48 ; 4-byte Folded Reload
	v_add_co_u32_e32 v2, vcc, 0x7000, v0
	v_addc_co_u32_e32 v3, vcc, 0, v1, vcc
	s_waitcnt vmcnt(0)
	global_store_dword v[2:3], v4, off offset:2048
	s_or_b64 exec, exec, s[0:1]
	s_and_b64 exec, exec, s[62:63]
	s_cbranch_execnz .LBB6_225
	s_branch .LBB6_226
	.section	.rodata,"a",@progbits
	.p2align	6, 0x0
	.amdhsa_kernel _Z10pnpoly_optILi32EEvPiPK15HIP_vector_typeIfLj2EES4_i
		.amdhsa_group_segment_fixed_size 0
		.amdhsa_private_segment_fixed_size 228
		.amdhsa_kernarg_size 28
		.amdhsa_user_sgpr_count 6
		.amdhsa_user_sgpr_private_segment_buffer 1
		.amdhsa_user_sgpr_dispatch_ptr 0
		.amdhsa_user_sgpr_queue_ptr 0
		.amdhsa_user_sgpr_kernarg_segment_ptr 1
		.amdhsa_user_sgpr_dispatch_id 0
		.amdhsa_user_sgpr_flat_scratch_init 0
		.amdhsa_user_sgpr_private_segment_size 0
		.amdhsa_uses_dynamic_stack 0
		.amdhsa_system_sgpr_private_segment_wavefront_offset 1
		.amdhsa_system_sgpr_workgroup_id_x 1
		.amdhsa_system_sgpr_workgroup_id_y 0
		.amdhsa_system_sgpr_workgroup_id_z 0
		.amdhsa_system_sgpr_workgroup_info 0
		.amdhsa_system_vgpr_workitem_id 0
		.amdhsa_next_free_vgpr 64
		.amdhsa_next_free_sgpr 84
		.amdhsa_reserve_vcc 1
		.amdhsa_reserve_flat_scratch 0
		.amdhsa_float_round_mode_32 0
		.amdhsa_float_round_mode_16_64 0
		.amdhsa_float_denorm_mode_32 3
		.amdhsa_float_denorm_mode_16_64 3
		.amdhsa_dx10_clamp 1
		.amdhsa_ieee_mode 1
		.amdhsa_fp16_overflow 0
		.amdhsa_exception_fp_ieee_invalid_op 0
		.amdhsa_exception_fp_denorm_src 0
		.amdhsa_exception_fp_ieee_div_zero 0
		.amdhsa_exception_fp_ieee_overflow 0
		.amdhsa_exception_fp_ieee_underflow 0
		.amdhsa_exception_fp_ieee_inexact 0
		.amdhsa_exception_int_div_zero 0
	.end_amdhsa_kernel
	.section	.text._Z10pnpoly_optILi32EEvPiPK15HIP_vector_typeIfLj2EES4_i,"axG",@progbits,_Z10pnpoly_optILi32EEvPiPK15HIP_vector_typeIfLj2EES4_i,comdat
.Lfunc_end6:
	.size	_Z10pnpoly_optILi32EEvPiPK15HIP_vector_typeIfLj2EES4_i, .Lfunc_end6-_Z10pnpoly_optILi32EEvPiPK15HIP_vector_typeIfLj2EES4_i
                                        ; -- End function
	.set _Z10pnpoly_optILi32EEvPiPK15HIP_vector_typeIfLj2EES4_i.num_vgpr, 64
	.set _Z10pnpoly_optILi32EEvPiPK15HIP_vector_typeIfLj2EES4_i.num_agpr, 0
	.set _Z10pnpoly_optILi32EEvPiPK15HIP_vector_typeIfLj2EES4_i.numbered_sgpr, 84
	.set _Z10pnpoly_optILi32EEvPiPK15HIP_vector_typeIfLj2EES4_i.num_named_barrier, 0
	.set _Z10pnpoly_optILi32EEvPiPK15HIP_vector_typeIfLj2EES4_i.private_seg_size, 228
	.set _Z10pnpoly_optILi32EEvPiPK15HIP_vector_typeIfLj2EES4_i.uses_vcc, 1
	.set _Z10pnpoly_optILi32EEvPiPK15HIP_vector_typeIfLj2EES4_i.uses_flat_scratch, 0
	.set _Z10pnpoly_optILi32EEvPiPK15HIP_vector_typeIfLj2EES4_i.has_dyn_sized_stack, 0
	.set _Z10pnpoly_optILi32EEvPiPK15HIP_vector_typeIfLj2EES4_i.has_recursion, 0
	.set _Z10pnpoly_optILi32EEvPiPK15HIP_vector_typeIfLj2EES4_i.has_indirect_call, 0
	.section	.AMDGPU.csdata,"",@progbits
; Kernel info:
; codeLenInByte = 7724
; TotalNumSgprs: 88
; NumVgprs: 64
; ScratchSize: 228
; MemoryBound: 0
; FloatMode: 240
; IeeeMode: 1
; LDSByteSize: 0 bytes/workgroup (compile time only)
; SGPRBlocks: 10
; VGPRBlocks: 15
; NumSGPRsForWavesPerEU: 88
; NumVGPRsForWavesPerEU: 64
; Occupancy: 4
; WaveLimiterHint : 0
; COMPUTE_PGM_RSRC2:SCRATCH_EN: 1
; COMPUTE_PGM_RSRC2:USER_SGPR: 6
; COMPUTE_PGM_RSRC2:TRAP_HANDLER: 0
; COMPUTE_PGM_RSRC2:TGID_X_EN: 1
; COMPUTE_PGM_RSRC2:TGID_Y_EN: 0
; COMPUTE_PGM_RSRC2:TGID_Z_EN: 0
; COMPUTE_PGM_RSRC2:TIDIG_COMP_CNT: 0
	.section	.text._Z10pnpoly_optILi64EEvPiPK15HIP_vector_typeIfLj2EES4_i,"axG",@progbits,_Z10pnpoly_optILi64EEvPiPK15HIP_vector_typeIfLj2EES4_i,comdat
	.protected	_Z10pnpoly_optILi64EEvPiPK15HIP_vector_typeIfLj2EES4_i ; -- Begin function _Z10pnpoly_optILi64EEvPiPK15HIP_vector_typeIfLj2EES4_i
	.globl	_Z10pnpoly_optILi64EEvPiPK15HIP_vector_typeIfLj2EES4_i
	.p2align	8
	.type	_Z10pnpoly_optILi64EEvPiPK15HIP_vector_typeIfLj2EES4_i,@function
_Z10pnpoly_optILi64EEvPiPK15HIP_vector_typeIfLj2EES4_i: ; @_Z10pnpoly_optILi64EEvPiPK15HIP_vector_typeIfLj2EES4_i
; %bb.0:
	s_load_dword s33, s[4:5], 0x18
	s_mov_b64 s[98:99], s[2:3]
	s_mov_b64 s[96:97], s[0:1]
	s_add_u32 s96, s96, s7
	v_lshl_or_b32 v8, s6, 14, v0
	s_addc_u32 s97, s97, 0
	s_waitcnt lgkmcnt(0)
	v_cmp_gt_i32_e32 vcc, s33, v8
	s_and_saveexec_b64 s[0:1], vcc
	s_cbranch_execz .LBB7_472
; %bb.1:
	s_load_dwordx2 s[26:27], s[4:5], 0x8
	v_ashrrev_i32_e32 v9, 31, v8
	v_lshlrev_b64 v[0:1], 3, v[8:9]
	s_waitcnt lgkmcnt(0)
	v_mov_b32_e32 v2, s27
	v_add_co_u32_e32 v10, vcc, s26, v0
	v_addc_co_u32_e32 v11, vcc, v2, v1, vcc
	global_load_dwordx2 v[0:1], v[10:11], off
	s_waitcnt vmcnt(0)
	buffer_store_dword v0, off, s[96:99], 0 offset:280 ; 4-byte Folded Spill
	s_nop 0
	buffer_store_dword v1, off, s[96:99], 0 offset:284 ; 4-byte Folded Spill
	v_add_u32_e32 v0, 0x100, v8
                                        ; implicit-def: $vgpr1
	v_cmp_gt_i32_e64 s[2:3], s33, v0
	buffer_store_dword v0, off, s[96:99], 0 ; 4-byte Folded Spill
	s_nop 0
	buffer_store_dword v1, off, s[96:99], 0 offset:4 ; 4-byte Folded Spill
	s_mov_b64 s[0:1], exec
                                        ; implicit-def: $vgpr63 : SGPR spill to VGPR lane
	v_writelane_b32 v63, s2, 0
	v_writelane_b32 v63, s3, 1
	s_and_b64 s[2:3], s[0:1], s[2:3]
	s_mov_b64 exec, s[2:3]
	s_cbranch_execz .LBB7_3
; %bb.2:
	global_load_dwordx2 v[0:1], v[10:11], off offset:2048
	s_waitcnt vmcnt(0)
	buffer_store_dword v0, off, s[96:99], 0 ; 4-byte Folded Spill
	s_nop 0
	buffer_store_dword v1, off, s[96:99], 0 offset:4 ; 4-byte Folded Spill
.LBB7_3:
	s_or_b64 exec, exec, s[0:1]
	v_add_u32_e32 v0, 0x200, v8
                                        ; implicit-def: $vgpr1
	v_cmp_gt_i32_e64 s[2:3], s33, v0
	buffer_store_dword v0, off, s[96:99], 0 offset:8 ; 4-byte Folded Spill
	s_nop 0
	buffer_store_dword v1, off, s[96:99], 0 offset:12 ; 4-byte Folded Spill
	s_mov_b64 s[0:1], exec
	v_writelane_b32 v63, s2, 2
	v_writelane_b32 v63, s3, 3
	s_and_b64 s[2:3], s[0:1], s[2:3]
	s_mov_b64 exec, s[2:3]
	s_cbranch_execz .LBB7_5
; %bb.4:
	v_add_co_u32_e32 v0, vcc, 0x1000, v10
	v_addc_co_u32_e32 v1, vcc, 0, v11, vcc
	global_load_dwordx2 v[0:1], v[0:1], off
	s_waitcnt vmcnt(0)
	buffer_store_dword v0, off, s[96:99], 0 offset:8 ; 4-byte Folded Spill
	s_nop 0
	buffer_store_dword v1, off, s[96:99], 0 offset:12 ; 4-byte Folded Spill
.LBB7_5:
	s_or_b64 exec, exec, s[0:1]
	v_add_u32_e32 v0, 0x300, v8
                                        ; implicit-def: $vgpr1
	v_cmp_gt_i32_e64 s[2:3], s33, v0
	buffer_store_dword v0, off, s[96:99], 0 offset:16 ; 4-byte Folded Spill
	s_nop 0
	buffer_store_dword v1, off, s[96:99], 0 offset:20 ; 4-byte Folded Spill
	s_mov_b64 s[0:1], exec
	v_writelane_b32 v63, s2, 4
	v_writelane_b32 v63, s3, 5
	s_and_b64 s[2:3], s[0:1], s[2:3]
	s_mov_b64 exec, s[2:3]
	s_cbranch_execz .LBB7_7
; %bb.6:
	v_add_co_u32_e32 v0, vcc, 0x1000, v10
	v_addc_co_u32_e32 v1, vcc, 0, v11, vcc
	global_load_dwordx2 v[0:1], v[0:1], off offset:2048
	s_waitcnt vmcnt(0)
	buffer_store_dword v0, off, s[96:99], 0 offset:16 ; 4-byte Folded Spill
	s_nop 0
	buffer_store_dword v1, off, s[96:99], 0 offset:20 ; 4-byte Folded Spill
.LBB7_7:
	s_or_b64 exec, exec, s[0:1]
	v_or_b32_e32 v0, 0x400, v8
	v_ashrrev_i32_e32 v1, 31, v0
	v_cmp_gt_i32_e64 s[2:3], s33, v0
	buffer_store_dword v0, off, s[96:99], 0 offset:552 ; 4-byte Folded Spill
	s_nop 0
	buffer_store_dword v1, off, s[96:99], 0 offset:556 ; 4-byte Folded Spill
                                        ; implicit-def: $vgpr1
	buffer_store_dword v0, off, s[96:99], 0 offset:24 ; 4-byte Folded Spill
	s_nop 0
	buffer_store_dword v1, off, s[96:99], 0 offset:28 ; 4-byte Folded Spill
	s_mov_b64 s[0:1], exec
	v_writelane_b32 v63, s2, 6
	v_writelane_b32 v63, s3, 7
	s_and_b64 s[2:3], s[0:1], s[2:3]
	s_mov_b64 exec, s[2:3]
	s_cbranch_execz .LBB7_9
; %bb.8:
	buffer_load_dword v0, off, s[96:99], 0 offset:552 ; 4-byte Folded Reload
	buffer_load_dword v1, off, s[96:99], 0 offset:556 ; 4-byte Folded Reload
	v_mov_b32_e32 v2, s27
	s_waitcnt vmcnt(0)
	v_lshlrev_b64 v[0:1], 3, v[0:1]
	v_add_co_u32_e32 v0, vcc, s26, v0
	v_addc_co_u32_e32 v1, vcc, v2, v1, vcc
	global_load_dwordx2 v[0:1], v[0:1], off
	s_waitcnt vmcnt(0)
	buffer_store_dword v0, off, s[96:99], 0 offset:24 ; 4-byte Folded Spill
	s_nop 0
	buffer_store_dword v1, off, s[96:99], 0 offset:28 ; 4-byte Folded Spill
.LBB7_9:
	s_or_b64 exec, exec, s[0:1]
	v_add_u32_e32 v0, 0x500, v8
                                        ; implicit-def: $vgpr1
	v_cmp_gt_i32_e64 s[2:3], s33, v0
	buffer_store_dword v0, off, s[96:99], 0 offset:32 ; 4-byte Folded Spill
	s_nop 0
	buffer_store_dword v1, off, s[96:99], 0 offset:36 ; 4-byte Folded Spill
	s_mov_b64 s[0:1], exec
	v_writelane_b32 v63, s2, 8
	v_writelane_b32 v63, s3, 9
	s_and_b64 s[2:3], s[0:1], s[2:3]
	s_mov_b64 exec, s[2:3]
	s_cbranch_execz .LBB7_11
; %bb.10:
	v_add_co_u32_e32 v0, vcc, 0x2000, v10
	v_addc_co_u32_e32 v1, vcc, 0, v11, vcc
	global_load_dwordx2 v[0:1], v[0:1], off offset:2048
	s_waitcnt vmcnt(0)
	buffer_store_dword v0, off, s[96:99], 0 offset:32 ; 4-byte Folded Spill
	s_nop 0
	buffer_store_dword v1, off, s[96:99], 0 offset:36 ; 4-byte Folded Spill
.LBB7_11:
	s_or_b64 exec, exec, s[0:1]
	v_add_u32_e32 v0, 0x600, v8
                                        ; implicit-def: $vgpr1
	v_cmp_gt_i32_e64 s[2:3], s33, v0
	buffer_store_dword v0, off, s[96:99], 0 offset:40 ; 4-byte Folded Spill
	s_nop 0
	buffer_store_dword v1, off, s[96:99], 0 offset:44 ; 4-byte Folded Spill
	s_mov_b64 s[0:1], exec
	v_writelane_b32 v63, s2, 10
	v_writelane_b32 v63, s3, 11
	s_and_b64 s[2:3], s[0:1], s[2:3]
	s_mov_b64 exec, s[2:3]
	s_cbranch_execz .LBB7_13
; %bb.12:
	v_add_co_u32_e32 v0, vcc, 0x3000, v10
	v_addc_co_u32_e32 v1, vcc, 0, v11, vcc
	global_load_dwordx2 v[0:1], v[0:1], off
	s_waitcnt vmcnt(0)
	buffer_store_dword v0, off, s[96:99], 0 offset:40 ; 4-byte Folded Spill
	s_nop 0
	buffer_store_dword v1, off, s[96:99], 0 offset:44 ; 4-byte Folded Spill
.LBB7_13:
	s_or_b64 exec, exec, s[0:1]
	v_add_u32_e32 v0, 0x700, v8
                                        ; implicit-def: $vgpr1
	v_cmp_gt_i32_e64 s[2:3], s33, v0
	buffer_store_dword v0, off, s[96:99], 0 offset:48 ; 4-byte Folded Spill
	s_nop 0
	buffer_store_dword v1, off, s[96:99], 0 offset:52 ; 4-byte Folded Spill
	s_mov_b64 s[0:1], exec
	v_writelane_b32 v63, s2, 12
	v_writelane_b32 v63, s3, 13
	s_and_b64 s[2:3], s[0:1], s[2:3]
	s_mov_b64 exec, s[2:3]
	s_cbranch_execz .LBB7_15
; %bb.14:
	v_add_co_u32_e32 v0, vcc, 0x3000, v10
	v_addc_co_u32_e32 v1, vcc, 0, v11, vcc
	global_load_dwordx2 v[0:1], v[0:1], off offset:2048
	s_waitcnt vmcnt(0)
	buffer_store_dword v0, off, s[96:99], 0 offset:48 ; 4-byte Folded Spill
	s_nop 0
	buffer_store_dword v1, off, s[96:99], 0 offset:52 ; 4-byte Folded Spill
.LBB7_15:
	s_or_b64 exec, exec, s[0:1]
	v_or_b32_e32 v0, 0x800, v8
	v_ashrrev_i32_e32 v1, 31, v0
	v_cmp_gt_i32_e64 s[2:3], s33, v0
	buffer_store_dword v0, off, s[96:99], 0 offset:560 ; 4-byte Folded Spill
	s_nop 0
	buffer_store_dword v1, off, s[96:99], 0 offset:564 ; 4-byte Folded Spill
                                        ; implicit-def: $vgpr1
	buffer_store_dword v0, off, s[96:99], 0 offset:56 ; 4-byte Folded Spill
	s_nop 0
	buffer_store_dword v1, off, s[96:99], 0 offset:60 ; 4-byte Folded Spill
	s_mov_b64 s[0:1], exec
	v_writelane_b32 v63, s2, 14
	v_writelane_b32 v63, s3, 15
	s_and_b64 s[2:3], s[0:1], s[2:3]
	s_mov_b64 exec, s[2:3]
	s_cbranch_execz .LBB7_17
; %bb.16:
	buffer_load_dword v0, off, s[96:99], 0 offset:560 ; 4-byte Folded Reload
	buffer_load_dword v1, off, s[96:99], 0 offset:564 ; 4-byte Folded Reload
	v_mov_b32_e32 v2, s27
	s_waitcnt vmcnt(0)
	v_lshlrev_b64 v[0:1], 3, v[0:1]
	v_add_co_u32_e32 v0, vcc, s26, v0
	v_addc_co_u32_e32 v1, vcc, v2, v1, vcc
	global_load_dwordx2 v[0:1], v[0:1], off
	s_waitcnt vmcnt(0)
	buffer_store_dword v0, off, s[96:99], 0 offset:56 ; 4-byte Folded Spill
	s_nop 0
	buffer_store_dword v1, off, s[96:99], 0 offset:60 ; 4-byte Folded Spill
.LBB7_17:
	s_or_b64 exec, exec, s[0:1]
	v_add_u32_e32 v0, 0x900, v8
                                        ; implicit-def: $vgpr1
	v_cmp_gt_i32_e64 s[2:3], s33, v0
	buffer_store_dword v0, off, s[96:99], 0 offset:64 ; 4-byte Folded Spill
	s_nop 0
	buffer_store_dword v1, off, s[96:99], 0 offset:68 ; 4-byte Folded Spill
	s_mov_b64 s[0:1], exec
	v_writelane_b32 v63, s2, 16
	v_writelane_b32 v63, s3, 17
	s_and_b64 s[2:3], s[0:1], s[2:3]
	s_mov_b64 exec, s[2:3]
	s_cbranch_execz .LBB7_19
; %bb.18:
	v_add_co_u32_e32 v0, vcc, 0x4000, v10
	v_addc_co_u32_e32 v1, vcc, 0, v11, vcc
	global_load_dwordx2 v[0:1], v[0:1], off offset:2048
	s_waitcnt vmcnt(0)
	buffer_store_dword v0, off, s[96:99], 0 offset:64 ; 4-byte Folded Spill
	s_nop 0
	buffer_store_dword v1, off, s[96:99], 0 offset:68 ; 4-byte Folded Spill
.LBB7_19:
	s_or_b64 exec, exec, s[0:1]
	v_add_u32_e32 v0, 0xa00, v8
                                        ; implicit-def: $vgpr1
	v_cmp_gt_i32_e64 s[2:3], s33, v0
	buffer_store_dword v0, off, s[96:99], 0 offset:72 ; 4-byte Folded Spill
	s_nop 0
	buffer_store_dword v1, off, s[96:99], 0 offset:76 ; 4-byte Folded Spill
	s_mov_b64 s[0:1], exec
	v_writelane_b32 v63, s2, 18
	v_writelane_b32 v63, s3, 19
	s_and_b64 s[2:3], s[0:1], s[2:3]
	s_mov_b64 exec, s[2:3]
	s_cbranch_execz .LBB7_21
; %bb.20:
	v_add_co_u32_e32 v0, vcc, 0x5000, v10
	v_addc_co_u32_e32 v1, vcc, 0, v11, vcc
	global_load_dwordx2 v[0:1], v[0:1], off
	s_waitcnt vmcnt(0)
	buffer_store_dword v0, off, s[96:99], 0 offset:72 ; 4-byte Folded Spill
	s_nop 0
	buffer_store_dword v1, off, s[96:99], 0 offset:76 ; 4-byte Folded Spill
.LBB7_21:
	s_or_b64 exec, exec, s[0:1]
	v_add_u32_e32 v0, 0xb00, v8
                                        ; implicit-def: $vgpr1
	v_cmp_gt_i32_e64 s[2:3], s33, v0
	buffer_store_dword v0, off, s[96:99], 0 offset:80 ; 4-byte Folded Spill
	s_nop 0
	buffer_store_dword v1, off, s[96:99], 0 offset:84 ; 4-byte Folded Spill
	s_mov_b64 s[0:1], exec
	v_writelane_b32 v63, s2, 20
	v_writelane_b32 v63, s3, 21
	s_and_b64 s[2:3], s[0:1], s[2:3]
	s_mov_b64 exec, s[2:3]
	s_cbranch_execz .LBB7_23
; %bb.22:
	v_add_co_u32_e32 v0, vcc, 0x5000, v10
	v_addc_co_u32_e32 v1, vcc, 0, v11, vcc
	global_load_dwordx2 v[0:1], v[0:1], off offset:2048
	s_waitcnt vmcnt(0)
	buffer_store_dword v0, off, s[96:99], 0 offset:80 ; 4-byte Folded Spill
	s_nop 0
	buffer_store_dword v1, off, s[96:99], 0 offset:84 ; 4-byte Folded Spill
.LBB7_23:
	s_or_b64 exec, exec, s[0:1]
	v_or_b32_e32 v0, 0xc00, v8
	v_ashrrev_i32_e32 v1, 31, v0
	v_cmp_gt_i32_e64 s[2:3], s33, v0
	buffer_store_dword v0, off, s[96:99], 0 offset:568 ; 4-byte Folded Spill
	s_nop 0
	buffer_store_dword v1, off, s[96:99], 0 offset:572 ; 4-byte Folded Spill
                                        ; implicit-def: $vgpr1
	buffer_store_dword v0, off, s[96:99], 0 offset:88 ; 4-byte Folded Spill
	s_nop 0
	buffer_store_dword v1, off, s[96:99], 0 offset:92 ; 4-byte Folded Spill
	s_mov_b64 s[0:1], exec
	v_writelane_b32 v63, s2, 22
	v_writelane_b32 v63, s3, 23
	s_and_b64 s[2:3], s[0:1], s[2:3]
	s_mov_b64 exec, s[2:3]
	s_cbranch_execz .LBB7_25
; %bb.24:
	buffer_load_dword v0, off, s[96:99], 0 offset:568 ; 4-byte Folded Reload
	buffer_load_dword v1, off, s[96:99], 0 offset:572 ; 4-byte Folded Reload
	v_mov_b32_e32 v2, s27
	s_waitcnt vmcnt(0)
	v_lshlrev_b64 v[0:1], 3, v[0:1]
	v_add_co_u32_e32 v0, vcc, s26, v0
	v_addc_co_u32_e32 v1, vcc, v2, v1, vcc
	global_load_dwordx2 v[0:1], v[0:1], off
	s_waitcnt vmcnt(0)
	buffer_store_dword v0, off, s[96:99], 0 offset:88 ; 4-byte Folded Spill
	s_nop 0
	buffer_store_dword v1, off, s[96:99], 0 offset:92 ; 4-byte Folded Spill
.LBB7_25:
	s_or_b64 exec, exec, s[0:1]
	v_add_u32_e32 v0, 0xd00, v8
                                        ; implicit-def: $vgpr1
	v_cmp_gt_i32_e64 s[2:3], s33, v0
	buffer_store_dword v0, off, s[96:99], 0 offset:96 ; 4-byte Folded Spill
	s_nop 0
	buffer_store_dword v1, off, s[96:99], 0 offset:100 ; 4-byte Folded Spill
	s_mov_b64 s[0:1], exec
	v_writelane_b32 v63, s2, 24
	v_writelane_b32 v63, s3, 25
	s_and_b64 s[2:3], s[0:1], s[2:3]
	s_mov_b64 exec, s[2:3]
	s_cbranch_execz .LBB7_27
; %bb.26:
	v_add_co_u32_e32 v0, vcc, 0x6000, v10
	v_addc_co_u32_e32 v1, vcc, 0, v11, vcc
	global_load_dwordx2 v[0:1], v[0:1], off offset:2048
	s_waitcnt vmcnt(0)
	buffer_store_dword v0, off, s[96:99], 0 offset:96 ; 4-byte Folded Spill
	s_nop 0
	buffer_store_dword v1, off, s[96:99], 0 offset:100 ; 4-byte Folded Spill
.LBB7_27:
	s_or_b64 exec, exec, s[0:1]
	v_add_u32_e32 v0, 0xe00, v8
                                        ; implicit-def: $vgpr1
	v_cmp_gt_i32_e64 s[2:3], s33, v0
	buffer_store_dword v0, off, s[96:99], 0 offset:104 ; 4-byte Folded Spill
	s_nop 0
	buffer_store_dword v1, off, s[96:99], 0 offset:108 ; 4-byte Folded Spill
	s_mov_b64 s[0:1], exec
	v_writelane_b32 v63, s2, 26
	v_writelane_b32 v63, s3, 27
	s_and_b64 s[2:3], s[0:1], s[2:3]
	s_mov_b64 exec, s[2:3]
	s_cbranch_execz .LBB7_29
; %bb.28:
	v_add_co_u32_e32 v0, vcc, 0x7000, v10
	v_addc_co_u32_e32 v1, vcc, 0, v11, vcc
	global_load_dwordx2 v[0:1], v[0:1], off
	s_waitcnt vmcnt(0)
	buffer_store_dword v0, off, s[96:99], 0 offset:104 ; 4-byte Folded Spill
	s_nop 0
	buffer_store_dword v1, off, s[96:99], 0 offset:108 ; 4-byte Folded Spill
.LBB7_29:
	s_or_b64 exec, exec, s[0:1]
	v_add_u32_e32 v0, 0xf00, v8
                                        ; implicit-def: $vgpr1
	v_cmp_gt_i32_e64 s[2:3], s33, v0
	buffer_store_dword v0, off, s[96:99], 0 offset:112 ; 4-byte Folded Spill
	s_nop 0
	buffer_store_dword v1, off, s[96:99], 0 offset:116 ; 4-byte Folded Spill
	s_mov_b64 s[0:1], exec
	v_writelane_b32 v63, s2, 28
	v_writelane_b32 v63, s3, 29
	s_and_b64 s[2:3], s[0:1], s[2:3]
	s_mov_b64 exec, s[2:3]
	s_cbranch_execz .LBB7_31
; %bb.30:
	v_add_co_u32_e32 v0, vcc, 0x7000, v10
	v_addc_co_u32_e32 v1, vcc, 0, v11, vcc
	global_load_dwordx2 v[0:1], v[0:1], off offset:2048
	s_waitcnt vmcnt(0)
	buffer_store_dword v0, off, s[96:99], 0 offset:112 ; 4-byte Folded Spill
	s_nop 0
	buffer_store_dword v1, off, s[96:99], 0 offset:116 ; 4-byte Folded Spill
.LBB7_31:
	s_or_b64 exec, exec, s[0:1]
	v_or_b32_e32 v0, 0x1000, v8
	v_ashrrev_i32_e32 v1, 31, v0
	v_cmp_gt_i32_e64 s[2:3], s33, v0
	buffer_store_dword v0, off, s[96:99], 0 offset:576 ; 4-byte Folded Spill
	s_nop 0
	buffer_store_dword v1, off, s[96:99], 0 offset:580 ; 4-byte Folded Spill
                                        ; implicit-def: $vgpr1
	buffer_store_dword v0, off, s[96:99], 0 offset:120 ; 4-byte Folded Spill
	s_nop 0
	buffer_store_dword v1, off, s[96:99], 0 offset:124 ; 4-byte Folded Spill
	s_mov_b64 s[0:1], exec
	v_writelane_b32 v63, s2, 30
	v_writelane_b32 v63, s3, 31
	s_and_b64 s[2:3], s[0:1], s[2:3]
	s_mov_b64 exec, s[2:3]
	s_cbranch_execz .LBB7_33
; %bb.32:
	buffer_load_dword v0, off, s[96:99], 0 offset:576 ; 4-byte Folded Reload
	buffer_load_dword v1, off, s[96:99], 0 offset:580 ; 4-byte Folded Reload
	v_mov_b32_e32 v2, s27
	s_waitcnt vmcnt(0)
	v_lshlrev_b64 v[0:1], 3, v[0:1]
	v_add_co_u32_e32 v0, vcc, s26, v0
	v_addc_co_u32_e32 v1, vcc, v2, v1, vcc
	global_load_dwordx2 v[0:1], v[0:1], off
	s_waitcnt vmcnt(0)
	buffer_store_dword v0, off, s[96:99], 0 offset:120 ; 4-byte Folded Spill
	s_nop 0
	buffer_store_dword v1, off, s[96:99], 0 offset:124 ; 4-byte Folded Spill
.LBB7_33:
	s_or_b64 exec, exec, s[0:1]
	v_add_u32_e32 v0, 0x1100, v8
                                        ; implicit-def: $vgpr1
	v_cmp_gt_i32_e64 s[2:3], s33, v0
	buffer_store_dword v0, off, s[96:99], 0 offset:128 ; 4-byte Folded Spill
	s_nop 0
	buffer_store_dword v1, off, s[96:99], 0 offset:132 ; 4-byte Folded Spill
	s_mov_b64 s[0:1], exec
	v_writelane_b32 v63, s2, 32
	v_writelane_b32 v63, s3, 33
	s_and_b64 s[2:3], s[0:1], s[2:3]
	s_mov_b64 exec, s[2:3]
	s_cbranch_execz .LBB7_35
; %bb.34:
	v_add_co_u32_e32 v0, vcc, 0x8000, v10
	v_addc_co_u32_e32 v1, vcc, 0, v11, vcc
	global_load_dwordx2 v[0:1], v[0:1], off offset:2048
	s_waitcnt vmcnt(0)
	buffer_store_dword v0, off, s[96:99], 0 offset:128 ; 4-byte Folded Spill
	s_nop 0
	buffer_store_dword v1, off, s[96:99], 0 offset:132 ; 4-byte Folded Spill
.LBB7_35:
	s_or_b64 exec, exec, s[0:1]
	v_add_u32_e32 v0, 0x1200, v8
                                        ; implicit-def: $vgpr1
	v_cmp_gt_i32_e64 s[2:3], s33, v0
	buffer_store_dword v0, off, s[96:99], 0 offset:136 ; 4-byte Folded Spill
	s_nop 0
	buffer_store_dword v1, off, s[96:99], 0 offset:140 ; 4-byte Folded Spill
	s_mov_b64 s[0:1], exec
	v_writelane_b32 v63, s2, 34
	v_writelane_b32 v63, s3, 35
	s_and_b64 s[2:3], s[0:1], s[2:3]
	s_mov_b64 exec, s[2:3]
	s_cbranch_execz .LBB7_37
; %bb.36:
	v_add_co_u32_e32 v0, vcc, 0x9000, v10
	v_addc_co_u32_e32 v1, vcc, 0, v11, vcc
	global_load_dwordx2 v[0:1], v[0:1], off
	s_waitcnt vmcnt(0)
	buffer_store_dword v0, off, s[96:99], 0 offset:136 ; 4-byte Folded Spill
	s_nop 0
	buffer_store_dword v1, off, s[96:99], 0 offset:140 ; 4-byte Folded Spill
.LBB7_37:
	s_or_b64 exec, exec, s[0:1]
	v_add_u32_e32 v0, 0x1300, v8
                                        ; implicit-def: $vgpr1
	v_cmp_gt_i32_e64 s[2:3], s33, v0
	buffer_store_dword v0, off, s[96:99], 0 offset:144 ; 4-byte Folded Spill
	s_nop 0
	buffer_store_dword v1, off, s[96:99], 0 offset:148 ; 4-byte Folded Spill
	s_mov_b64 s[0:1], exec
	v_writelane_b32 v63, s2, 36
	v_writelane_b32 v63, s3, 37
	s_and_b64 s[2:3], s[0:1], s[2:3]
	s_mov_b64 exec, s[2:3]
	s_cbranch_execz .LBB7_39
; %bb.38:
	v_add_co_u32_e32 v0, vcc, 0x9000, v10
	v_addc_co_u32_e32 v1, vcc, 0, v11, vcc
	global_load_dwordx2 v[0:1], v[0:1], off offset:2048
	s_waitcnt vmcnt(0)
	buffer_store_dword v0, off, s[96:99], 0 offset:144 ; 4-byte Folded Spill
	s_nop 0
	buffer_store_dword v1, off, s[96:99], 0 offset:148 ; 4-byte Folded Spill
.LBB7_39:
	s_or_b64 exec, exec, s[0:1]
	v_or_b32_e32 v0, 0x1400, v8
	v_ashrrev_i32_e32 v1, 31, v0
	v_cmp_gt_i32_e64 s[2:3], s33, v0
	buffer_store_dword v0, off, s[96:99], 0 offset:584 ; 4-byte Folded Spill
	s_nop 0
	buffer_store_dword v1, off, s[96:99], 0 offset:588 ; 4-byte Folded Spill
                                        ; implicit-def: $vgpr1
	buffer_store_dword v0, off, s[96:99], 0 offset:152 ; 4-byte Folded Spill
	s_nop 0
	buffer_store_dword v1, off, s[96:99], 0 offset:156 ; 4-byte Folded Spill
	s_mov_b64 s[0:1], exec
	v_writelane_b32 v63, s2, 38
	v_writelane_b32 v63, s3, 39
	s_and_b64 s[2:3], s[0:1], s[2:3]
	s_mov_b64 exec, s[2:3]
	s_cbranch_execz .LBB7_41
; %bb.40:
	buffer_load_dword v0, off, s[96:99], 0 offset:584 ; 4-byte Folded Reload
	buffer_load_dword v1, off, s[96:99], 0 offset:588 ; 4-byte Folded Reload
	v_mov_b32_e32 v2, s27
	s_waitcnt vmcnt(0)
	v_lshlrev_b64 v[0:1], 3, v[0:1]
	v_add_co_u32_e32 v0, vcc, s26, v0
	v_addc_co_u32_e32 v1, vcc, v2, v1, vcc
	global_load_dwordx2 v[0:1], v[0:1], off
	s_waitcnt vmcnt(0)
	buffer_store_dword v0, off, s[96:99], 0 offset:152 ; 4-byte Folded Spill
	s_nop 0
	buffer_store_dword v1, off, s[96:99], 0 offset:156 ; 4-byte Folded Spill
.LBB7_41:
	s_or_b64 exec, exec, s[0:1]
	v_add_u32_e32 v0, 0x1500, v8
                                        ; implicit-def: $vgpr1
	v_cmp_gt_i32_e64 s[2:3], s33, v0
	buffer_store_dword v0, off, s[96:99], 0 offset:160 ; 4-byte Folded Spill
	s_nop 0
	buffer_store_dword v1, off, s[96:99], 0 offset:164 ; 4-byte Folded Spill
	s_mov_b64 s[0:1], exec
	v_writelane_b32 v63, s2, 40
	v_writelane_b32 v63, s3, 41
	s_and_b64 s[2:3], s[0:1], s[2:3]
	s_mov_b64 exec, s[2:3]
	s_cbranch_execz .LBB7_43
; %bb.42:
	v_add_co_u32_e32 v0, vcc, 0xa000, v10
	v_addc_co_u32_e32 v1, vcc, 0, v11, vcc
	global_load_dwordx2 v[0:1], v[0:1], off offset:2048
	s_waitcnt vmcnt(0)
	buffer_store_dword v0, off, s[96:99], 0 offset:160 ; 4-byte Folded Spill
	s_nop 0
	buffer_store_dword v1, off, s[96:99], 0 offset:164 ; 4-byte Folded Spill
.LBB7_43:
	s_or_b64 exec, exec, s[0:1]
	v_add_u32_e32 v0, 0x1600, v8
                                        ; implicit-def: $vgpr1
	v_cmp_gt_i32_e64 s[2:3], s33, v0
	buffer_store_dword v0, off, s[96:99], 0 offset:168 ; 4-byte Folded Spill
	s_nop 0
	buffer_store_dword v1, off, s[96:99], 0 offset:172 ; 4-byte Folded Spill
	s_mov_b64 s[0:1], exec
	v_writelane_b32 v63, s2, 42
	v_writelane_b32 v63, s3, 43
	s_and_b64 s[2:3], s[0:1], s[2:3]
	s_mov_b64 exec, s[2:3]
	s_cbranch_execz .LBB7_45
; %bb.44:
	v_add_co_u32_e32 v0, vcc, 0xb000, v10
	v_addc_co_u32_e32 v1, vcc, 0, v11, vcc
	global_load_dwordx2 v[0:1], v[0:1], off
	s_waitcnt vmcnt(0)
	buffer_store_dword v0, off, s[96:99], 0 offset:168 ; 4-byte Folded Spill
	s_nop 0
	buffer_store_dword v1, off, s[96:99], 0 offset:172 ; 4-byte Folded Spill
.LBB7_45:
	s_or_b64 exec, exec, s[0:1]
	v_add_u32_e32 v0, 0x1700, v8
                                        ; implicit-def: $vgpr1
	v_cmp_gt_i32_e64 s[2:3], s33, v0
	buffer_store_dword v0, off, s[96:99], 0 offset:176 ; 4-byte Folded Spill
	s_nop 0
	buffer_store_dword v1, off, s[96:99], 0 offset:180 ; 4-byte Folded Spill
	s_mov_b64 s[0:1], exec
	v_writelane_b32 v63, s2, 44
	v_writelane_b32 v63, s3, 45
	s_and_b64 s[2:3], s[0:1], s[2:3]
	s_mov_b64 exec, s[2:3]
	s_cbranch_execz .LBB7_47
; %bb.46:
	v_add_co_u32_e32 v0, vcc, 0xb000, v10
	v_addc_co_u32_e32 v1, vcc, 0, v11, vcc
	global_load_dwordx2 v[0:1], v[0:1], off offset:2048
	s_waitcnt vmcnt(0)
	buffer_store_dword v0, off, s[96:99], 0 offset:176 ; 4-byte Folded Spill
	s_nop 0
	buffer_store_dword v1, off, s[96:99], 0 offset:180 ; 4-byte Folded Spill
.LBB7_47:
	s_or_b64 exec, exec, s[0:1]
	v_or_b32_e32 v0, 0x1800, v8
	v_cmp_gt_i32_e64 s[48:49], s33, v0
	v_ashrrev_i32_e32 v1, 31, v0
	buffer_store_dword v0, off, s[96:99], 0 offset:592 ; 4-byte Folded Spill
	s_nop 0
	buffer_store_dword v1, off, s[96:99], 0 offset:596 ; 4-byte Folded Spill
                                        ; implicit-def: $vgpr1
	buffer_store_dword v0, off, s[96:99], 0 offset:184 ; 4-byte Folded Spill
	s_nop 0
	buffer_store_dword v1, off, s[96:99], 0 offset:188 ; 4-byte Folded Spill
	s_and_saveexec_b64 s[0:1], s[48:49]
	s_cbranch_execz .LBB7_49
; %bb.48:
	buffer_load_dword v0, off, s[96:99], 0 offset:592 ; 4-byte Folded Reload
	buffer_load_dword v1, off, s[96:99], 0 offset:596 ; 4-byte Folded Reload
	v_mov_b32_e32 v2, s27
	s_waitcnt vmcnt(0)
	v_lshlrev_b64 v[0:1], 3, v[0:1]
	v_add_co_u32_e32 v0, vcc, s26, v0
	v_addc_co_u32_e32 v1, vcc, v2, v1, vcc
	global_load_dwordx2 v[0:1], v[0:1], off
	s_waitcnt vmcnt(0)
	buffer_store_dword v0, off, s[96:99], 0 offset:184 ; 4-byte Folded Spill
	s_nop 0
	buffer_store_dword v1, off, s[96:99], 0 offset:188 ; 4-byte Folded Spill
.LBB7_49:
	s_or_b64 exec, exec, s[0:1]
	v_add_u32_e32 v0, 0x1900, v8
	v_cmp_gt_i32_e64 s[50:51], s33, v0
                                        ; implicit-def: $vgpr1
	buffer_store_dword v0, off, s[96:99], 0 offset:192 ; 4-byte Folded Spill
	s_nop 0
	buffer_store_dword v1, off, s[96:99], 0 offset:196 ; 4-byte Folded Spill
	s_and_saveexec_b64 s[0:1], s[50:51]
	s_cbranch_execz .LBB7_51
; %bb.50:
	v_add_co_u32_e32 v0, vcc, 0xc000, v10
	v_addc_co_u32_e32 v1, vcc, 0, v11, vcc
	global_load_dwordx2 v[0:1], v[0:1], off offset:2048
	s_waitcnt vmcnt(0)
	buffer_store_dword v0, off, s[96:99], 0 offset:192 ; 4-byte Folded Spill
	s_nop 0
	buffer_store_dword v1, off, s[96:99], 0 offset:196 ; 4-byte Folded Spill
.LBB7_51:
	s_or_b64 exec, exec, s[0:1]
	v_add_u32_e32 v0, 0x1a00, v8
	v_cmp_gt_i32_e64 s[52:53], s33, v0
                                        ; implicit-def: $vgpr1
	buffer_store_dword v0, off, s[96:99], 0 offset:200 ; 4-byte Folded Spill
	s_nop 0
	buffer_store_dword v1, off, s[96:99], 0 offset:204 ; 4-byte Folded Spill
	s_and_saveexec_b64 s[0:1], s[52:53]
	s_cbranch_execz .LBB7_53
; %bb.52:
	v_add_co_u32_e32 v0, vcc, 0xd000, v10
	v_addc_co_u32_e32 v1, vcc, 0, v11, vcc
	global_load_dwordx2 v[0:1], v[0:1], off
	s_waitcnt vmcnt(0)
	buffer_store_dword v0, off, s[96:99], 0 offset:200 ; 4-byte Folded Spill
	s_nop 0
	buffer_store_dword v1, off, s[96:99], 0 offset:204 ; 4-byte Folded Spill
.LBB7_53:
	s_or_b64 exec, exec, s[0:1]
	v_add_u32_e32 v0, 0x1b00, v8
	v_cmp_gt_i32_e64 s[54:55], s33, v0
                                        ; implicit-def: $vgpr1
	buffer_store_dword v0, off, s[96:99], 0 offset:208 ; 4-byte Folded Spill
	s_nop 0
	buffer_store_dword v1, off, s[96:99], 0 offset:212 ; 4-byte Folded Spill
	s_and_saveexec_b64 s[0:1], s[54:55]
	s_cbranch_execz .LBB7_55
; %bb.54:
	v_add_co_u32_e32 v0, vcc, 0xd000, v10
	v_addc_co_u32_e32 v1, vcc, 0, v11, vcc
	global_load_dwordx2 v[0:1], v[0:1], off offset:2048
	s_waitcnt vmcnt(0)
	buffer_store_dword v0, off, s[96:99], 0 offset:208 ; 4-byte Folded Spill
	s_nop 0
	buffer_store_dword v1, off, s[96:99], 0 offset:212 ; 4-byte Folded Spill
.LBB7_55:
	s_or_b64 exec, exec, s[0:1]
	v_or_b32_e32 v0, 0x1c00, v8
	v_cmp_gt_i32_e64 s[56:57], s33, v0
	v_ashrrev_i32_e32 v1, 31, v0
	buffer_store_dword v0, off, s[96:99], 0 offset:600 ; 4-byte Folded Spill
	s_nop 0
	buffer_store_dword v1, off, s[96:99], 0 offset:604 ; 4-byte Folded Spill
                                        ; implicit-def: $vgpr1
	buffer_store_dword v0, off, s[96:99], 0 offset:216 ; 4-byte Folded Spill
	s_nop 0
	buffer_store_dword v1, off, s[96:99], 0 offset:220 ; 4-byte Folded Spill
	s_and_saveexec_b64 s[0:1], s[56:57]
	s_cbranch_execz .LBB7_57
; %bb.56:
	buffer_load_dword v0, off, s[96:99], 0 offset:600 ; 4-byte Folded Reload
	buffer_load_dword v1, off, s[96:99], 0 offset:604 ; 4-byte Folded Reload
	v_mov_b32_e32 v2, s27
	s_waitcnt vmcnt(0)
	v_lshlrev_b64 v[0:1], 3, v[0:1]
	v_add_co_u32_e32 v0, vcc, s26, v0
	v_addc_co_u32_e32 v1, vcc, v2, v1, vcc
	global_load_dwordx2 v[0:1], v[0:1], off
	s_waitcnt vmcnt(0)
	buffer_store_dword v0, off, s[96:99], 0 offset:216 ; 4-byte Folded Spill
	s_nop 0
	buffer_store_dword v1, off, s[96:99], 0 offset:220 ; 4-byte Folded Spill
.LBB7_57:
	s_or_b64 exec, exec, s[0:1]
	v_add_u32_e32 v0, 0x1d00, v8
	v_cmp_gt_i32_e64 s[58:59], s33, v0
                                        ; implicit-def: $vgpr1
	buffer_store_dword v0, off, s[96:99], 0 offset:224 ; 4-byte Folded Spill
	s_nop 0
	buffer_store_dword v1, off, s[96:99], 0 offset:228 ; 4-byte Folded Spill
	s_and_saveexec_b64 s[0:1], s[58:59]
	s_cbranch_execz .LBB7_59
; %bb.58:
	v_add_co_u32_e32 v0, vcc, 0xe000, v10
	v_addc_co_u32_e32 v1, vcc, 0, v11, vcc
	global_load_dwordx2 v[0:1], v[0:1], off offset:2048
	s_waitcnt vmcnt(0)
	buffer_store_dword v0, off, s[96:99], 0 offset:224 ; 4-byte Folded Spill
	s_nop 0
	buffer_store_dword v1, off, s[96:99], 0 offset:228 ; 4-byte Folded Spill
.LBB7_59:
	s_or_b64 exec, exec, s[0:1]
	v_add_u32_e32 v0, 0x1e00, v8
	v_cmp_gt_i32_e64 s[60:61], s33, v0
                                        ; implicit-def: $vgpr1
	buffer_store_dword v0, off, s[96:99], 0 offset:232 ; 4-byte Folded Spill
	s_nop 0
	buffer_store_dword v1, off, s[96:99], 0 offset:236 ; 4-byte Folded Spill
	s_and_saveexec_b64 s[0:1], s[60:61]
	s_cbranch_execz .LBB7_61
; %bb.60:
	v_add_co_u32_e32 v0, vcc, 0xf000, v10
	v_addc_co_u32_e32 v1, vcc, 0, v11, vcc
	global_load_dwordx2 v[0:1], v[0:1], off
	s_waitcnt vmcnt(0)
	buffer_store_dword v0, off, s[96:99], 0 offset:232 ; 4-byte Folded Spill
	s_nop 0
	buffer_store_dword v1, off, s[96:99], 0 offset:236 ; 4-byte Folded Spill
.LBB7_61:
	s_or_b64 exec, exec, s[0:1]
	v_add_u32_e32 v0, 0x1f00, v8
	v_cmp_gt_i32_e64 s[62:63], s33, v0
                                        ; implicit-def: $vgpr1
	buffer_store_dword v0, off, s[96:99], 0 offset:240 ; 4-byte Folded Spill
	s_nop 0
	buffer_store_dword v1, off, s[96:99], 0 offset:244 ; 4-byte Folded Spill
	s_and_saveexec_b64 s[0:1], s[62:63]
	s_cbranch_execz .LBB7_63
; %bb.62:
	v_add_co_u32_e32 v0, vcc, 0xf000, v10
	v_addc_co_u32_e32 v1, vcc, 0, v11, vcc
	global_load_dwordx2 v[0:1], v[0:1], off offset:2048
	s_waitcnt vmcnt(0)
	buffer_store_dword v0, off, s[96:99], 0 offset:240 ; 4-byte Folded Spill
	s_nop 0
	buffer_store_dword v1, off, s[96:99], 0 offset:244 ; 4-byte Folded Spill
.LBB7_63:
	s_or_b64 exec, exec, s[0:1]
	v_or_b32_e32 v0, 0x2000, v8
	v_cmp_gt_i32_e64 s[64:65], s33, v0
	v_ashrrev_i32_e32 v1, 31, v0
	buffer_store_dword v0, off, s[96:99], 0 offset:608 ; 4-byte Folded Spill
	s_nop 0
	buffer_store_dword v1, off, s[96:99], 0 offset:612 ; 4-byte Folded Spill
                                        ; implicit-def: $vgpr1
	buffer_store_dword v0, off, s[96:99], 0 offset:248 ; 4-byte Folded Spill
	s_nop 0
	buffer_store_dword v1, off, s[96:99], 0 offset:252 ; 4-byte Folded Spill
	s_and_saveexec_b64 s[0:1], s[64:65]
	s_cbranch_execz .LBB7_65
; %bb.64:
	buffer_load_dword v0, off, s[96:99], 0 offset:608 ; 4-byte Folded Reload
	buffer_load_dword v1, off, s[96:99], 0 offset:612 ; 4-byte Folded Reload
	v_mov_b32_e32 v2, s27
	s_waitcnt vmcnt(0)
	v_lshlrev_b64 v[0:1], 3, v[0:1]
	v_add_co_u32_e32 v0, vcc, s26, v0
	v_addc_co_u32_e32 v1, vcc, v2, v1, vcc
	global_load_dwordx2 v[0:1], v[0:1], off
	s_waitcnt vmcnt(0)
	buffer_store_dword v0, off, s[96:99], 0 offset:248 ; 4-byte Folded Spill
	s_nop 0
	buffer_store_dword v1, off, s[96:99], 0 offset:252 ; 4-byte Folded Spill
.LBB7_65:
	s_or_b64 exec, exec, s[0:1]
	v_add_u32_e32 v0, 0x2100, v8
	v_cmp_gt_i32_e64 s[66:67], s33, v0
                                        ; implicit-def: $vgpr1
	buffer_store_dword v0, off, s[96:99], 0 offset:256 ; 4-byte Folded Spill
	s_nop 0
	buffer_store_dword v1, off, s[96:99], 0 offset:260 ; 4-byte Folded Spill
	s_and_saveexec_b64 s[0:1], s[66:67]
	s_cbranch_execz .LBB7_67
; %bb.66:
	v_add_co_u32_e32 v0, vcc, 0x10000, v10
	v_addc_co_u32_e32 v1, vcc, 0, v11, vcc
	global_load_dwordx2 v[0:1], v[0:1], off offset:2048
	s_waitcnt vmcnt(0)
	buffer_store_dword v0, off, s[96:99], 0 offset:256 ; 4-byte Folded Spill
	s_nop 0
	buffer_store_dword v1, off, s[96:99], 0 offset:260 ; 4-byte Folded Spill
.LBB7_67:
	s_or_b64 exec, exec, s[0:1]
	v_add_u32_e32 v0, 0x2200, v8
	v_cmp_gt_i32_e64 s[68:69], s33, v0
                                        ; implicit-def: $vgpr1
	buffer_store_dword v0, off, s[96:99], 0 offset:264 ; 4-byte Folded Spill
	s_nop 0
	buffer_store_dword v1, off, s[96:99], 0 offset:268 ; 4-byte Folded Spill
	s_and_saveexec_b64 s[0:1], s[68:69]
	s_cbranch_execz .LBB7_69
; %bb.68:
	v_add_co_u32_e32 v0, vcc, 0x11000, v10
	v_addc_co_u32_e32 v1, vcc, 0, v11, vcc
	global_load_dwordx2 v[0:1], v[0:1], off
	s_waitcnt vmcnt(0)
	buffer_store_dword v0, off, s[96:99], 0 offset:264 ; 4-byte Folded Spill
	s_nop 0
	buffer_store_dword v1, off, s[96:99], 0 offset:268 ; 4-byte Folded Spill
.LBB7_69:
	s_or_b64 exec, exec, s[0:1]
	v_add_u32_e32 v0, 0x2300, v8
	v_cmp_gt_i32_e64 s[70:71], s33, v0
                                        ; implicit-def: $vgpr1
	buffer_store_dword v0, off, s[96:99], 0 offset:272 ; 4-byte Folded Spill
	s_nop 0
	buffer_store_dword v1, off, s[96:99], 0 offset:276 ; 4-byte Folded Spill
	s_and_saveexec_b64 s[0:1], s[70:71]
	s_cbranch_execz .LBB7_71
; %bb.70:
	v_add_co_u32_e32 v0, vcc, 0x11000, v10
	v_addc_co_u32_e32 v1, vcc, 0, v11, vcc
	global_load_dwordx2 v[0:1], v[0:1], off offset:2048
	s_waitcnt vmcnt(0)
	buffer_store_dword v0, off, s[96:99], 0 offset:272 ; 4-byte Folded Spill
	s_nop 0
	buffer_store_dword v1, off, s[96:99], 0 offset:276 ; 4-byte Folded Spill
.LBB7_71:
	s_or_b64 exec, exec, s[0:1]
	v_or_b32_e32 v0, 0x2400, v8
	v_cmp_gt_i32_e64 s[72:73], s33, v0
	v_ashrrev_i32_e32 v1, 31, v0
	buffer_store_dword v0, off, s[96:99], 0 offset:616 ; 4-byte Folded Spill
	s_nop 0
	buffer_store_dword v1, off, s[96:99], 0 offset:620 ; 4-byte Folded Spill
                                        ; implicit-def: $vgpr19
	s_and_saveexec_b64 s[0:1], s[72:73]
	s_cbranch_execz .LBB7_73
; %bb.72:
	buffer_load_dword v0, off, s[96:99], 0 offset:616 ; 4-byte Folded Reload
	buffer_load_dword v1, off, s[96:99], 0 offset:620 ; 4-byte Folded Reload
	v_mov_b32_e32 v2, s27
	s_waitcnt vmcnt(0)
	v_lshlrev_b64 v[0:1], 3, v[0:1]
	v_add_co_u32_e32 v0, vcc, s26, v0
	v_addc_co_u32_e32 v1, vcc, v2, v1, vcc
	global_load_dwordx2 v[18:19], v[0:1], off
.LBB7_73:
	s_or_b64 exec, exec, s[0:1]
	v_add_u32_e32 v0, 0x2500, v8
	v_cmp_gt_i32_e64 s[74:75], s33, v0
                                        ; implicit-def: $vgpr23
	s_and_saveexec_b64 s[0:1], s[74:75]
	s_cbranch_execz .LBB7_75
; %bb.74:
	v_add_co_u32_e32 v0, vcc, 0x12000, v10
	v_addc_co_u32_e32 v1, vcc, 0, v11, vcc
	global_load_dwordx2 v[22:23], v[0:1], off offset:2048
.LBB7_75:
	s_or_b64 exec, exec, s[0:1]
	v_add_u32_e32 v0, 0x2600, v8
	v_cmp_gt_i32_e64 s[76:77], s33, v0
                                        ; implicit-def: $vgpr27
	s_and_saveexec_b64 s[0:1], s[76:77]
	s_cbranch_execz .LBB7_77
; %bb.76:
	v_add_co_u32_e32 v0, vcc, 0x13000, v10
	v_addc_co_u32_e32 v1, vcc, 0, v11, vcc
	global_load_dwordx2 v[26:27], v[0:1], off
.LBB7_77:
	s_or_b64 exec, exec, s[0:1]
	v_add_u32_e32 v0, 0x2700, v8
	v_cmp_gt_i32_e64 s[78:79], s33, v0
                                        ; implicit-def: $vgpr31
	s_and_saveexec_b64 s[0:1], s[78:79]
	s_cbranch_execz .LBB7_79
; %bb.78:
	v_add_co_u32_e32 v0, vcc, 0x13000, v10
	v_addc_co_u32_e32 v1, vcc, 0, v11, vcc
	global_load_dwordx2 v[30:31], v[0:1], off offset:2048
.LBB7_79:
	s_or_b64 exec, exec, s[0:1]
	v_or_b32_e32 v0, 0x2800, v8
	v_cmp_gt_i32_e64 s[80:81], s33, v0
	v_ashrrev_i32_e32 v1, 31, v0
	buffer_store_dword v0, off, s[96:99], 0 offset:624 ; 4-byte Folded Spill
	s_nop 0
	buffer_store_dword v1, off, s[96:99], 0 offset:628 ; 4-byte Folded Spill
                                        ; implicit-def: $vgpr33
	s_and_saveexec_b64 s[0:1], s[80:81]
	s_cbranch_execz .LBB7_81
; %bb.80:
	buffer_load_dword v0, off, s[96:99], 0 offset:624 ; 4-byte Folded Reload
	buffer_load_dword v1, off, s[96:99], 0 offset:628 ; 4-byte Folded Reload
	v_mov_b32_e32 v2, s27
	s_waitcnt vmcnt(0)
	v_lshlrev_b64 v[0:1], 3, v[0:1]
	v_add_co_u32_e32 v0, vcc, s26, v0
	v_addc_co_u32_e32 v1, vcc, v2, v1, vcc
	global_load_dwordx2 v[32:33], v[0:1], off
.LBB7_81:
	s_or_b64 exec, exec, s[0:1]
	v_add_u32_e32 v0, 0x2900, v8
	v_cmp_gt_i32_e64 s[82:83], s33, v0
                                        ; implicit-def: $vgpr37
	s_and_saveexec_b64 s[0:1], s[82:83]
	s_cbranch_execz .LBB7_83
; %bb.82:
	v_add_co_u32_e32 v0, vcc, 0x14000, v10
	v_addc_co_u32_e32 v1, vcc, 0, v11, vcc
	global_load_dwordx2 v[36:37], v[0:1], off offset:2048
.LBB7_83:
	s_or_b64 exec, exec, s[0:1]
	v_add_u32_e32 v0, 0x2a00, v8
	v_cmp_gt_i32_e64 s[84:85], s33, v0
                                        ; implicit-def: $vgpr39
	s_and_saveexec_b64 s[0:1], s[84:85]
	s_cbranch_execz .LBB7_85
; %bb.84:
	v_add_co_u32_e32 v0, vcc, 0x15000, v10
	v_addc_co_u32_e32 v1, vcc, 0, v11, vcc
	global_load_dwordx2 v[38:39], v[0:1], off
.LBB7_85:
	s_or_b64 exec, exec, s[0:1]
	v_add_u32_e32 v0, 0x2b00, v8
	v_cmp_gt_i32_e64 s[86:87], s33, v0
                                        ; implicit-def: $vgpr43
	s_and_saveexec_b64 s[0:1], s[86:87]
	s_cbranch_execz .LBB7_87
; %bb.86:
	v_add_co_u32_e32 v0, vcc, 0x15000, v10
	v_addc_co_u32_e32 v1, vcc, 0, v11, vcc
	global_load_dwordx2 v[42:43], v[0:1], off offset:2048
.LBB7_87:
	s_or_b64 exec, exec, s[0:1]
	v_or_b32_e32 v0, 0x2c00, v8
	v_cmp_gt_i32_e64 s[88:89], s33, v0
	v_ashrrev_i32_e32 v1, 31, v0
	buffer_store_dword v0, off, s[96:99], 0 offset:632 ; 4-byte Folded Spill
	s_nop 0
	buffer_store_dword v1, off, s[96:99], 0 offset:636 ; 4-byte Folded Spill
                                        ; implicit-def: $vgpr45
	s_and_saveexec_b64 s[0:1], s[88:89]
	s_cbranch_execz .LBB7_89
; %bb.88:
	buffer_load_dword v0, off, s[96:99], 0 offset:632 ; 4-byte Folded Reload
	buffer_load_dword v1, off, s[96:99], 0 offset:636 ; 4-byte Folded Reload
	v_mov_b32_e32 v2, s27
	s_waitcnt vmcnt(0)
	v_lshlrev_b64 v[0:1], 3, v[0:1]
	v_add_co_u32_e32 v0, vcc, s26, v0
	v_addc_co_u32_e32 v1, vcc, v2, v1, vcc
	global_load_dwordx2 v[44:45], v[0:1], off
.LBB7_89:
	s_or_b64 exec, exec, s[0:1]
	v_add_u32_e32 v0, 0x2d00, v8
	v_cmp_gt_i32_e64 s[90:91], s33, v0
                                        ; implicit-def: $vgpr49
	s_and_saveexec_b64 s[0:1], s[90:91]
	s_cbranch_execz .LBB7_91
; %bb.90:
	v_add_co_u32_e32 v0, vcc, 0x16000, v10
	v_addc_co_u32_e32 v1, vcc, 0, v11, vcc
	global_load_dwordx2 v[48:49], v[0:1], off offset:2048
.LBB7_91:
	s_or_b64 exec, exec, s[0:1]
	v_add_u32_e32 v0, 0x2e00, v8
	v_cmp_gt_i32_e64 s[92:93], s33, v0
                                        ; implicit-def: $vgpr53
	s_and_saveexec_b64 s[0:1], s[92:93]
	s_cbranch_execz .LBB7_93
; %bb.92:
	v_add_co_u32_e32 v0, vcc, 0x17000, v10
	v_addc_co_u32_e32 v1, vcc, 0, v11, vcc
	global_load_dwordx2 v[52:53], v[0:1], off
.LBB7_93:
	s_or_b64 exec, exec, s[0:1]
	v_add_u32_e32 v0, 0x2f00, v8
	v_cmp_gt_i32_e64 s[94:95], s33, v0
                                        ; implicit-def: $vgpr55
	s_and_saveexec_b64 s[0:1], s[94:95]
	s_cbranch_execz .LBB7_95
; %bb.94:
	v_add_co_u32_e32 v0, vcc, 0x17000, v10
	v_addc_co_u32_e32 v1, vcc, 0, v11, vcc
	global_load_dwordx2 v[54:55], v[0:1], off offset:2048
.LBB7_95:
	s_or_b64 exec, exec, s[0:1]
	v_or_b32_e32 v0, 0x3000, v8
	v_cmp_gt_i32_e64 s[0:1], s33, v0
	v_ashrrev_i32_e32 v1, 31, v0
	buffer_store_dword v0, off, s[96:99], 0 offset:640 ; 4-byte Folded Spill
	s_nop 0
	buffer_store_dword v1, off, s[96:99], 0 offset:644 ; 4-byte Folded Spill
                                        ; implicit-def: $vgpr59
	s_and_saveexec_b64 s[2:3], s[0:1]
	s_cbranch_execz .LBB7_97
; %bb.96:
	buffer_load_dword v0, off, s[96:99], 0 offset:640 ; 4-byte Folded Reload
	buffer_load_dword v1, off, s[96:99], 0 offset:644 ; 4-byte Folded Reload
	v_mov_b32_e32 v2, s27
	s_waitcnt vmcnt(0)
	v_lshlrev_b64 v[0:1], 3, v[0:1]
	v_add_co_u32_e32 v0, vcc, s26, v0
	v_addc_co_u32_e32 v1, vcc, v2, v1, vcc
	global_load_dwordx2 v[58:59], v[0:1], off
.LBB7_97:
	s_or_b64 exec, exec, s[2:3]
	v_add_u32_e32 v0, 0x3100, v8
	v_cmp_gt_i32_e64 s[2:3], s33, v0
                                        ; implicit-def: $vgpr61
	s_and_saveexec_b64 s[6:7], s[2:3]
	s_cbranch_execz .LBB7_99
; %bb.98:
	v_add_co_u32_e32 v0, vcc, 0x18000, v10
	v_addc_co_u32_e32 v1, vcc, 0, v11, vcc
	global_load_dwordx2 v[60:61], v[0:1], off offset:2048
.LBB7_99:
	s_or_b64 exec, exec, s[6:7]
	v_add_u32_e32 v0, 0x3200, v8
	v_cmp_gt_i32_e64 s[34:35], s33, v0
                                        ; implicit-def: $vgpr13
	s_and_saveexec_b64 s[6:7], s[34:35]
	s_cbranch_execz .LBB7_101
; %bb.100:
	v_add_co_u32_e32 v0, vcc, 0x19000, v10
	v_addc_co_u32_e32 v1, vcc, 0, v11, vcc
	global_load_dwordx2 v[12:13], v[0:1], off
.LBB7_101:
	s_or_b64 exec, exec, s[6:7]
	v_add_u32_e32 v0, 0x3300, v8
	v_cmp_gt_i32_e64 s[6:7], s33, v0
                                        ; implicit-def: $vgpr21
	s_and_saveexec_b64 s[8:9], s[6:7]
	s_cbranch_execz .LBB7_103
; %bb.102:
	v_add_co_u32_e32 v0, vcc, 0x19000, v10
	v_addc_co_u32_e32 v1, vcc, 0, v11, vcc
	global_load_dwordx2 v[20:21], v[0:1], off offset:2048
.LBB7_103:
	s_or_b64 exec, exec, s[8:9]
	v_or_b32_e32 v0, 0x3400, v8
	v_cmp_gt_i32_e64 s[8:9], s33, v0
	v_ashrrev_i32_e32 v1, 31, v0
	buffer_store_dword v0, off, s[96:99], 0 offset:648 ; 4-byte Folded Spill
	s_nop 0
	buffer_store_dword v1, off, s[96:99], 0 offset:652 ; 4-byte Folded Spill
                                        ; implicit-def: $vgpr25
	s_and_saveexec_b64 s[10:11], s[8:9]
	s_cbranch_execz .LBB7_105
; %bb.104:
	buffer_load_dword v0, off, s[96:99], 0 offset:648 ; 4-byte Folded Reload
	buffer_load_dword v1, off, s[96:99], 0 offset:652 ; 4-byte Folded Reload
	v_mov_b32_e32 v2, s27
	s_waitcnt vmcnt(0)
	v_lshlrev_b64 v[0:1], 3, v[0:1]
	v_add_co_u32_e32 v0, vcc, s26, v0
	v_addc_co_u32_e32 v1, vcc, v2, v1, vcc
	global_load_dwordx2 v[24:25], v[0:1], off
.LBB7_105:
	s_or_b64 exec, exec, s[10:11]
	v_add_u32_e32 v0, 0x3500, v8
	v_cmp_gt_i32_e64 s[10:11], s33, v0
                                        ; implicit-def: $vgpr35
	s_and_saveexec_b64 s[12:13], s[10:11]
	s_cbranch_execz .LBB7_107
; %bb.106:
	v_add_co_u32_e32 v0, vcc, 0x1a000, v10
	v_addc_co_u32_e32 v1, vcc, 0, v11, vcc
	global_load_dwordx2 v[34:35], v[0:1], off offset:2048
.LBB7_107:
	s_or_b64 exec, exec, s[12:13]
	v_add_u32_e32 v0, 0x3600, v8
	v_cmp_gt_i32_e64 s[12:13], s33, v0
                                        ; implicit-def: $vgpr41
	s_and_saveexec_b64 s[14:15], s[12:13]
	s_cbranch_execz .LBB7_109
; %bb.108:
	v_add_co_u32_e32 v0, vcc, 0x1b000, v10
	v_addc_co_u32_e32 v1, vcc, 0, v11, vcc
	global_load_dwordx2 v[40:41], v[0:1], off
.LBB7_109:
	s_or_b64 exec, exec, s[14:15]
	v_add_u32_e32 v0, 0x3700, v8
	v_cmp_gt_i32_e64 s[14:15], s33, v0
                                        ; implicit-def: $vgpr51
	s_and_saveexec_b64 s[16:17], s[14:15]
	s_cbranch_execz .LBB7_111
; %bb.110:
	v_add_co_u32_e32 v0, vcc, 0x1b000, v10
	v_addc_co_u32_e32 v1, vcc, 0, v11, vcc
	global_load_dwordx2 v[50:51], v[0:1], off offset:2048
.LBB7_111:
	s_or_b64 exec, exec, s[16:17]
	v_or_b32_e32 v0, 0x3800, v8
	v_cmp_gt_i32_e64 s[16:17], s33, v0
	v_ashrrev_i32_e32 v1, 31, v0
	buffer_store_dword v0, off, s[96:99], 0 offset:656 ; 4-byte Folded Spill
	s_nop 0
	buffer_store_dword v1, off, s[96:99], 0 offset:660 ; 4-byte Folded Spill
                                        ; implicit-def: $vgpr57
	s_and_saveexec_b64 s[18:19], s[16:17]
	s_cbranch_execz .LBB7_113
; %bb.112:
	buffer_load_dword v0, off, s[96:99], 0 offset:656 ; 4-byte Folded Reload
	buffer_load_dword v1, off, s[96:99], 0 offset:660 ; 4-byte Folded Reload
	v_mov_b32_e32 v2, s27
	s_waitcnt vmcnt(0)
	v_lshlrev_b64 v[0:1], 3, v[0:1]
	v_add_co_u32_e32 v0, vcc, s26, v0
	v_addc_co_u32_e32 v1, vcc, v2, v1, vcc
	global_load_dwordx2 v[56:57], v[0:1], off
.LBB7_113:
	s_or_b64 exec, exec, s[18:19]
	v_add_u32_e32 v0, 0x3900, v8
	v_cmp_gt_i32_e64 s[18:19], s33, v0
                                        ; implicit-def: $vgpr7
	s_and_saveexec_b64 s[20:21], s[18:19]
	s_cbranch_execz .LBB7_115
; %bb.114:
	v_add_co_u32_e32 v0, vcc, 0x1c000, v10
	v_addc_co_u32_e32 v1, vcc, 0, v11, vcc
	global_load_dwordx2 v[6:7], v[0:1], off offset:2048
.LBB7_115:
	s_or_b64 exec, exec, s[20:21]
	v_add_u32_e32 v0, 0x3a00, v8
	v_cmp_gt_i32_e64 s[20:21], s33, v0
                                        ; implicit-def: $vgpr17
	s_and_saveexec_b64 s[22:23], s[20:21]
	s_cbranch_execz .LBB7_117
; %bb.116:
	v_add_co_u32_e32 v0, vcc, 0x1d000, v10
	v_addc_co_u32_e32 v1, vcc, 0, v11, vcc
	global_load_dwordx2 v[16:17], v[0:1], off
.LBB7_117:
	s_or_b64 exec, exec, s[22:23]
	v_add_u32_e32 v0, 0x3b00, v8
	v_cmp_gt_i32_e64 s[22:23], s33, v0
                                        ; implicit-def: $vgpr29
	s_and_saveexec_b64 s[24:25], s[22:23]
	s_cbranch_execz .LBB7_119
; %bb.118:
	v_add_co_u32_e32 v0, vcc, 0x1d000, v10
	v_addc_co_u32_e32 v1, vcc, 0, v11, vcc
	global_load_dwordx2 v[28:29], v[0:1], off offset:2048
.LBB7_119:
	s_or_b64 exec, exec, s[24:25]
	v_or_b32_e32 v0, 0x3c00, v8
	v_cmp_gt_i32_e64 s[24:25], s33, v0
	v_ashrrev_i32_e32 v1, 31, v0
	buffer_store_dword v0, off, s[96:99], 0 offset:664 ; 4-byte Folded Spill
	s_nop 0
	buffer_store_dword v1, off, s[96:99], 0 offset:668 ; 4-byte Folded Spill
                                        ; implicit-def: $vgpr47
	s_and_saveexec_b64 s[28:29], s[24:25]
	s_cbranch_execz .LBB7_121
; %bb.120:
	buffer_load_dword v0, off, s[96:99], 0 offset:664 ; 4-byte Folded Reload
	buffer_load_dword v1, off, s[96:99], 0 offset:668 ; 4-byte Folded Reload
	v_mov_b32_e32 v2, s27
	s_waitcnt vmcnt(0)
	v_lshlrev_b64 v[0:1], 3, v[0:1]
	v_add_co_u32_e32 v0, vcc, s26, v0
	v_addc_co_u32_e32 v1, vcc, v2, v1, vcc
	global_load_dwordx2 v[46:47], v[0:1], off
.LBB7_121:
	s_or_b64 exec, exec, s[28:29]
	v_add_u32_e32 v0, 0x3d00, v8
	v_cmp_gt_i32_e64 s[26:27], s33, v0
                                        ; implicit-def: $vgpr1
	s_and_saveexec_b64 s[28:29], s[26:27]
	s_cbranch_execz .LBB7_123
; %bb.122:
	v_add_co_u32_e32 v0, vcc, 0x1e000, v10
	v_addc_co_u32_e32 v1, vcc, 0, v11, vcc
	global_load_dwordx2 v[0:1], v[0:1], off offset:2048
.LBB7_123:
	s_or_b64 exec, exec, s[28:29]
	s_load_dwordx2 s[38:39], s[4:5], 0x10
	v_add_u32_e32 v2, 0x3e00, v8
	v_cmp_gt_i32_e64 s[28:29], s33, v2
                                        ; implicit-def: $vgpr5
	s_and_saveexec_b64 s[30:31], s[28:29]
	s_cbranch_execz .LBB7_125
; %bb.124:
	v_add_co_u32_e32 v2, vcc, 0x1f000, v10
	v_addc_co_u32_e32 v3, vcc, 0, v11, vcc
	global_load_dwordx2 v[4:5], v[2:3], off
.LBB7_125:
	s_or_b64 exec, exec, s[30:31]
	s_load_dwordx2 s[36:37], s[4:5], 0x0
	v_add_u32_e32 v2, 0x3f00, v8
	v_cmp_gt_i32_e64 s[30:31], s33, v2
                                        ; implicit-def: $vgpr3
	s_and_saveexec_b64 s[4:5], s[30:31]
	s_cbranch_execz .LBB7_127
; %bb.126:
	v_add_co_u32_e32 v2, vcc, 0x1f000, v10
	v_addc_co_u32_e32 v3, vcc, 0, v11, vcc
	global_load_dwordx2 v[2:3], v[2:3], off offset:2048
.LBB7_127:
	s_or_b64 exec, exec, s[4:5]
	buffer_store_dword v8, off, s[96:99], 0 offset:288 ; 4-byte Folded Spill
	s_nop 0
	buffer_store_dword v9, off, s[96:99], 0 offset:292 ; 4-byte Folded Spill
	v_mov_b32_e32 v8, 0
	buffer_store_dword v8, off, s[96:99], 0 offset:300 ; 4-byte Folded Spill
	v_mov_b32_e32 v8, 0
	;; [unrolled: 2-line block ×58, first 2 shown]
	s_waitcnt lgkmcnt(0)
	s_load_dwordx2 s[44:45], s[38:39], 0x12b8
	buffer_store_dword v8, off, s[96:99], 0 offset:528 ; 4-byte Folded Spill
	v_mov_b32_e32 v8, 0
	buffer_store_dword v8, off, s[96:99], 0 offset:532 ; 4-byte Folded Spill
	v_mov_b32_e32 v8, 0
	;; [unrolled: 2-line block ×5, first 2 shown]
	s_mov_b64 s[40:41], 0
	s_waitcnt lgkmcnt(0)
	s_mov_b32 s42, s44
	buffer_store_dword v8, off, s[96:99], 0 offset:548 ; 4-byte Folded Spill
	v_mov_b32_e32 v8, 0
	buffer_store_dword v8, off, s[96:99], 0 offset:296 ; 4-byte Folded Spill
.LBB7_128:                              ; =>This Inner Loop Header: Depth=1
	s_add_u32 s4, s38, s40
	s_addc_u32 s5, s39, s41
	s_mov_b32 s33, s42
	s_load_dwordx2 s[42:43], s[4:5], 0x0
	s_waitcnt lgkmcnt(0)
	v_mov_b32_e32 v62, s42
	v_mov_b32_e32 v8, s43
	v_sub_f32_e32 v9, s33, v62
	v_sub_f32_e32 v8, s45, v8
	v_div_scale_f32 v62, s[4:5], v8, v8, v9
	v_div_scale_f32 v10, vcc, v9, v8, v9
	v_rcp_f32_e32 v11, v62
	v_fma_f32 v14, -v62, v11, 1.0
	v_fmac_f32_e32 v11, v14, v11
	v_mul_f32_e32 v14, v10, v11
	v_fma_f32 v15, -v62, v14, v10
	v_fmac_f32_e32 v14, v15, v11
	v_fma_f32 v10, -v62, v14, v10
	v_div_fmas_f32 v10, v10, v11, v14
	buffer_load_dword v14, off, s[96:99], 0 offset:280 ; 4-byte Folded Reload
	buffer_load_dword v15, off, s[96:99], 0 offset:284 ; 4-byte Folded Reload
	v_div_fixup_f32 v62, v10, v8, v9
	s_waitcnt vmcnt(0)
	v_cmp_ngt_f32_e32 vcc, s45, v15
	v_cmp_gt_f32_e64 s[4:5], s43, v15
	s_xor_b64 s[4:5], s[4:5], vcc
	s_xor_b64 s[46:47], s[4:5], -1
	s_and_saveexec_b64 s[4:5], s[46:47]
	s_cbranch_execz .LBB7_132
; %bb.129:                              ;   in Loop: Header=BB7_128 Depth=1
	buffer_load_dword v9, off, s[96:99], 0 offset:280 ; 4-byte Folded Reload
	buffer_load_dword v10, off, s[96:99], 0 offset:284 ; 4-byte Folded Reload
	s_waitcnt vmcnt(0)
	v_subrev_f32_e32 v8, s43, v10
	v_fma_f32 v8, v62, v8, s42
	v_cmp_lt_f32_e32 vcc, v9, v8
	s_and_saveexec_b64 s[46:47], vcc
	s_cbranch_execz .LBB7_131
; %bb.130:                              ;   in Loop: Header=BB7_128 Depth=1
	buffer_load_dword v8, off, s[96:99], 0 offset:296 ; 4-byte Folded Reload
	s_waitcnt vmcnt(0)
	v_cmp_eq_u32_e32 vcc, 0, v8
	v_cndmask_b32_e64 v8, 0, 1, vcc
	buffer_store_dword v8, off, s[96:99], 0 offset:296 ; 4-byte Folded Spill
.LBB7_131:                              ;   in Loop: Header=BB7_128 Depth=1
	s_or_b64 exec, exec, s[46:47]
.LBB7_132:                              ;   in Loop: Header=BB7_128 Depth=1
	s_or_b64 exec, exec, s[4:5]
	buffer_load_dword v8, off, s[96:99], 0  ; 4-byte Folded Reload
	buffer_load_dword v9, off, s[96:99], 0 offset:4 ; 4-byte Folded Reload
	s_waitcnt vmcnt(0)
	v_cmp_gt_f32_e32 vcc, s43, v9
	v_cmp_ngt_f32_e64 s[4:5], s45, v9
	s_xor_b64 s[4:5], vcc, s[4:5]
	s_xor_b64 s[46:47], s[4:5], -1
	s_mov_b64 s[4:5], exec
	buffer_load_dword v9, off, s[96:99], 0 offset:288 ; 4-byte Folded Reload
	buffer_load_dword v10, off, s[96:99], 0 offset:292 ; 4-byte Folded Reload
	s_and_b64 s[46:47], s[4:5], s[46:47]
	s_mov_b64 exec, s[46:47]
	s_cbranch_execz .LBB7_136
; %bb.133:                              ;   in Loop: Header=BB7_128 Depth=1
	buffer_load_dword v14, off, s[96:99], 0 ; 4-byte Folded Reload
	buffer_load_dword v15, off, s[96:99], 0 offset:4 ; 4-byte Folded Reload
	s_waitcnt vmcnt(0)
	v_subrev_f32_e32 v8, s43, v15
	v_fma_f32 v8, v62, v8, s42
	v_cmp_lt_f32_e32 vcc, v14, v8
	s_and_saveexec_b64 s[46:47], vcc
	s_cbranch_execz .LBB7_135
; %bb.134:                              ;   in Loop: Header=BB7_128 Depth=1
	buffer_load_dword v8, off, s[96:99], 0 offset:548 ; 4-byte Folded Reload
	s_waitcnt vmcnt(0)
	v_cmp_eq_u32_e32 vcc, 0, v8
	v_cndmask_b32_e64 v8, 0, 1, vcc
	buffer_store_dword v8, off, s[96:99], 0 offset:548 ; 4-byte Folded Spill
.LBB7_135:                              ;   in Loop: Header=BB7_128 Depth=1
	s_or_b64 exec, exec, s[46:47]
.LBB7_136:                              ;   in Loop: Header=BB7_128 Depth=1
	s_or_b64 exec, exec, s[4:5]
	buffer_load_dword v14, off, s[96:99], 0 offset:8 ; 4-byte Folded Reload
	buffer_load_dword v15, off, s[96:99], 0 offset:12 ; 4-byte Folded Reload
	s_waitcnt vmcnt(0)
	v_cmp_gt_f32_e32 vcc, s43, v15
	v_cmp_ngt_f32_e64 s[4:5], s45, v15
	s_xor_b64 s[4:5], vcc, s[4:5]
	s_xor_b64 s[46:47], s[4:5], -1
	s_and_saveexec_b64 s[4:5], s[46:47]
	s_cbranch_execz .LBB7_140
; %bb.137:                              ;   in Loop: Header=BB7_128 Depth=1
	buffer_load_dword v14, off, s[96:99], 0 offset:8 ; 4-byte Folded Reload
	buffer_load_dword v15, off, s[96:99], 0 offset:12 ; 4-byte Folded Reload
	s_waitcnt vmcnt(0)
	v_subrev_f32_e32 v8, s43, v15
	v_fma_f32 v8, v62, v8, s42
	v_cmp_lt_f32_e32 vcc, v14, v8
	s_and_saveexec_b64 s[46:47], vcc
	s_cbranch_execz .LBB7_139
; %bb.138:                              ;   in Loop: Header=BB7_128 Depth=1
	buffer_load_dword v8, off, s[96:99], 0 offset:544 ; 4-byte Folded Reload
	s_waitcnt vmcnt(0)
	v_cmp_eq_u32_e32 vcc, 0, v8
	v_cndmask_b32_e64 v8, 0, 1, vcc
	buffer_store_dword v8, off, s[96:99], 0 offset:544 ; 4-byte Folded Spill
.LBB7_139:                              ;   in Loop: Header=BB7_128 Depth=1
	s_or_b64 exec, exec, s[46:47]
.LBB7_140:                              ;   in Loop: Header=BB7_128 Depth=1
	s_or_b64 exec, exec, s[4:5]
	buffer_load_dword v14, off, s[96:99], 0 offset:16 ; 4-byte Folded Reload
	buffer_load_dword v15, off, s[96:99], 0 offset:20 ; 4-byte Folded Reload
	s_waitcnt vmcnt(0)
	v_cmp_gt_f32_e32 vcc, s43, v15
	v_cmp_ngt_f32_e64 s[4:5], s45, v15
	s_xor_b64 s[4:5], vcc, s[4:5]
	s_xor_b64 s[46:47], s[4:5], -1
	s_and_saveexec_b64 s[4:5], s[46:47]
	s_cbranch_execz .LBB7_144
; %bb.141:                              ;   in Loop: Header=BB7_128 Depth=1
	buffer_load_dword v14, off, s[96:99], 0 offset:16 ; 4-byte Folded Reload
	buffer_load_dword v15, off, s[96:99], 0 offset:20 ; 4-byte Folded Reload
	s_waitcnt vmcnt(0)
	v_subrev_f32_e32 v8, s43, v15
	v_fma_f32 v8, v62, v8, s42
	v_cmp_lt_f32_e32 vcc, v14, v8
	s_and_saveexec_b64 s[46:47], vcc
	s_cbranch_execz .LBB7_143
; %bb.142:                              ;   in Loop: Header=BB7_128 Depth=1
	buffer_load_dword v8, off, s[96:99], 0 offset:540 ; 4-byte Folded Reload
	s_waitcnt vmcnt(0)
	v_cmp_eq_u32_e32 vcc, 0, v8
	v_cndmask_b32_e64 v8, 0, 1, vcc
	buffer_store_dword v8, off, s[96:99], 0 offset:540 ; 4-byte Folded Spill
.LBB7_143:                              ;   in Loop: Header=BB7_128 Depth=1
	s_or_b64 exec, exec, s[46:47]
.LBB7_144:                              ;   in Loop: Header=BB7_128 Depth=1
	;; [unrolled: 28-line block ×34, first 2 shown]
	s_or_b64 exec, exec, s[4:5]
	v_cmp_gt_f32_e32 vcc, s43, v19
	v_cmp_ngt_f32_e64 s[4:5], s45, v19
	s_xor_b64 s[4:5], vcc, s[4:5]
	s_xor_b64 s[46:47], s[4:5], -1
	s_and_saveexec_b64 s[4:5], s[46:47]
	s_cbranch_execz .LBB7_276
; %bb.273:                              ;   in Loop: Header=BB7_128 Depth=1
	v_subrev_f32_e32 v8, s43, v19
	v_fma_f32 v8, v62, v8, s42
	v_cmp_lt_f32_e32 vcc, v18, v8
	s_and_saveexec_b64 s[46:47], vcc
	s_cbranch_execz .LBB7_275
; %bb.274:                              ;   in Loop: Header=BB7_128 Depth=1
	buffer_load_dword v8, off, s[96:99], 0 offset:408 ; 4-byte Folded Reload
	s_waitcnt vmcnt(0)
	v_cmp_eq_u32_e32 vcc, 0, v8
	v_cndmask_b32_e64 v8, 0, 1, vcc
	buffer_store_dword v8, off, s[96:99], 0 offset:408 ; 4-byte Folded Spill
.LBB7_275:                              ;   in Loop: Header=BB7_128 Depth=1
	s_or_b64 exec, exec, s[46:47]
.LBB7_276:                              ;   in Loop: Header=BB7_128 Depth=1
	s_or_b64 exec, exec, s[4:5]
	v_cmp_gt_f32_e32 vcc, s43, v23
	v_cmp_ngt_f32_e64 s[4:5], s45, v23
	s_xor_b64 s[4:5], vcc, s[4:5]
	s_xor_b64 s[46:47], s[4:5], -1
	s_and_saveexec_b64 s[4:5], s[46:47]
	s_cbranch_execz .LBB7_280
; %bb.277:                              ;   in Loop: Header=BB7_128 Depth=1
	v_subrev_f32_e32 v8, s43, v23
	v_fma_f32 v8, v62, v8, s42
	v_cmp_lt_f32_e32 vcc, v22, v8
	s_and_saveexec_b64 s[46:47], vcc
	s_cbranch_execz .LBB7_279
; %bb.278:                              ;   in Loop: Header=BB7_128 Depth=1
	buffer_load_dword v8, off, s[96:99], 0 offset:404 ; 4-byte Folded Reload
	s_waitcnt vmcnt(0)
	v_cmp_eq_u32_e32 vcc, 0, v8
	v_cndmask_b32_e64 v8, 0, 1, vcc
	buffer_store_dword v8, off, s[96:99], 0 offset:404 ; 4-byte Folded Spill
.LBB7_279:                              ;   in Loop: Header=BB7_128 Depth=1
	s_or_b64 exec, exec, s[46:47]
.LBB7_280:                              ;   in Loop: Header=BB7_128 Depth=1
	;; [unrolled: 22-line block ×28, first 2 shown]
	s_or_b64 exec, exec, s[4:5]
	s_add_u32 s40, s40, 8
	s_addc_u32 s41, s41, 0
	s_cmpk_lg_i32 s40, 0x12c0
	s_cbranch_scc0 .LBB7_386
; %bb.385:                              ;   in Loop: Header=BB7_128 Depth=1
	s_mov_b32 s45, s43
	s_branch .LBB7_128
.LBB7_386:
	v_lshlrev_b64 v[0:1], 2, v[9:10]
	v_mov_b32_e32 v2, s37
	v_add_co_u32_e32 v0, vcc, s36, v0
	v_addc_co_u32_e32 v1, vcc, v2, v1, vcc
	buffer_load_dword v2, off, s[96:99], 0 offset:296 ; 4-byte Folded Reload
	s_waitcnt vmcnt(0)
	global_store_dword v[0:1], v2, off
	s_mov_b64 s[4:5], exec
	v_readlane_b32 s38, v63, 0
	v_readlane_b32 s39, v63, 1
	s_and_b64 s[38:39], s[4:5], s[38:39]
	s_mov_b64 exec, s[38:39]
	s_cbranch_execz .LBB7_388
; %bb.387:
	buffer_load_dword v2, off, s[96:99], 0 offset:548 ; 4-byte Folded Reload
	s_waitcnt vmcnt(0)
	global_store_dword v[0:1], v2, off offset:1024
.LBB7_388:
	s_or_b64 exec, exec, s[4:5]
	s_mov_b64 s[4:5], exec
	v_readlane_b32 s38, v63, 2
	v_readlane_b32 s39, v63, 3
	s_and_b64 s[38:39], s[4:5], s[38:39]
	s_mov_b64 exec, s[38:39]
	s_cbranch_execz .LBB7_390
; %bb.389:
	buffer_load_dword v2, off, s[96:99], 0 offset:544 ; 4-byte Folded Reload
	s_waitcnt vmcnt(0)
	global_store_dword v[0:1], v2, off offset:2048
.LBB7_390:
	s_or_b64 exec, exec, s[4:5]
	;; [unrolled: 12-line block ×3, first 2 shown]
	s_mov_b64 s[4:5], exec
	v_readlane_b32 s38, v63, 6
	v_readlane_b32 s39, v63, 7
	s_and_b64 s[38:39], s[4:5], s[38:39]
	s_mov_b64 exec, s[38:39]
	s_cbranch_execz .LBB7_394
; %bb.393:
	buffer_load_dword v2, off, s[96:99], 0 offset:552 ; 4-byte Folded Reload
	buffer_load_dword v3, off, s[96:99], 0 offset:556 ; 4-byte Folded Reload
	v_mov_b32_e32 v4, s37
	s_waitcnt vmcnt(0)
	v_lshlrev_b64 v[2:3], 2, v[2:3]
	v_add_co_u32_e32 v2, vcc, s36, v2
	v_addc_co_u32_e32 v3, vcc, v4, v3, vcc
	buffer_load_dword v4, off, s[96:99], 0 offset:536 ; 4-byte Folded Reload
	s_waitcnt vmcnt(0)
	global_store_dword v[2:3], v4, off
.LBB7_394:
	s_or_b64 exec, exec, s[4:5]
	s_mov_b64 s[4:5], exec
	v_readlane_b32 s38, v63, 8
	v_readlane_b32 s39, v63, 9
	s_and_b64 s[38:39], s[4:5], s[38:39]
	s_mov_b64 exec, s[38:39]
	s_cbranch_execz .LBB7_396
; %bb.395:
	buffer_load_dword v4, off, s[96:99], 0 offset:532 ; 4-byte Folded Reload
	v_add_co_u32_e32 v2, vcc, 0x1000, v0
	v_addc_co_u32_e32 v3, vcc, 0, v1, vcc
	s_waitcnt vmcnt(0)
	global_store_dword v[2:3], v4, off offset:1024
.LBB7_396:
	s_or_b64 exec, exec, s[4:5]
	s_mov_b64 s[4:5], exec
	v_readlane_b32 s38, v63, 10
	v_readlane_b32 s39, v63, 11
	s_and_b64 s[38:39], s[4:5], s[38:39]
	s_mov_b64 exec, s[38:39]
	s_cbranch_execz .LBB7_398
; %bb.397:
	buffer_load_dword v4, off, s[96:99], 0 offset:528 ; 4-byte Folded Reload
	v_add_co_u32_e32 v2, vcc, 0x1000, v0
	v_addc_co_u32_e32 v3, vcc, 0, v1, vcc
	s_waitcnt vmcnt(0)
	global_store_dword v[2:3], v4, off offset:2048
.LBB7_398:
	s_or_b64 exec, exec, s[4:5]
	s_mov_b64 s[4:5], exec
	v_readlane_b32 s38, v63, 12
	v_readlane_b32 s39, v63, 13
	s_and_b64 s[38:39], s[4:5], s[38:39]
	s_mov_b64 exec, s[38:39]
	s_cbranch_execz .LBB7_400
; %bb.399:
	buffer_load_dword v4, off, s[96:99], 0 offset:524 ; 4-byte Folded Reload
	v_add_co_u32_e32 v2, vcc, 0x1000, v0
	v_addc_co_u32_e32 v3, vcc, 0, v1, vcc
	s_waitcnt vmcnt(0)
	global_store_dword v[2:3], v4, off offset:3072
.LBB7_400:
	s_or_b64 exec, exec, s[4:5]
	s_mov_b64 s[4:5], exec
	v_readlane_b32 s38, v63, 14
	v_readlane_b32 s39, v63, 15
	s_and_b64 s[38:39], s[4:5], s[38:39]
	s_mov_b64 exec, s[38:39]
	s_cbranch_execz .LBB7_402
; %bb.401:
	buffer_load_dword v2, off, s[96:99], 0 offset:560 ; 4-byte Folded Reload
	buffer_load_dword v3, off, s[96:99], 0 offset:564 ; 4-byte Folded Reload
	v_mov_b32_e32 v4, s37
	s_waitcnt vmcnt(0)
	v_lshlrev_b64 v[2:3], 2, v[2:3]
	v_add_co_u32_e32 v2, vcc, s36, v2
	v_addc_co_u32_e32 v3, vcc, v4, v3, vcc
	buffer_load_dword v4, off, s[96:99], 0 offset:520 ; 4-byte Folded Reload
	s_waitcnt vmcnt(0)
	global_store_dword v[2:3], v4, off
.LBB7_402:
	s_or_b64 exec, exec, s[4:5]
	s_mov_b64 s[4:5], exec
	v_readlane_b32 s38, v63, 16
	v_readlane_b32 s39, v63, 17
	s_and_b64 s[38:39], s[4:5], s[38:39]
	s_mov_b64 exec, s[38:39]
	s_cbranch_execz .LBB7_404
; %bb.403:
	buffer_load_dword v4, off, s[96:99], 0 offset:516 ; 4-byte Folded Reload
	v_add_co_u32_e32 v2, vcc, 0x2000, v0
	v_addc_co_u32_e32 v3, vcc, 0, v1, vcc
	s_waitcnt vmcnt(0)
	global_store_dword v[2:3], v4, off offset:1024
.LBB7_404:
	s_or_b64 exec, exec, s[4:5]
	s_mov_b64 s[4:5], exec
	v_readlane_b32 s38, v63, 18
	v_readlane_b32 s39, v63, 19
	s_and_b64 s[38:39], s[4:5], s[38:39]
	s_mov_b64 exec, s[38:39]
	s_cbranch_execz .LBB7_406
; %bb.405:
	buffer_load_dword v4, off, s[96:99], 0 offset:512 ; 4-byte Folded Reload
	v_add_co_u32_e32 v2, vcc, 0x2000, v0
	v_addc_co_u32_e32 v3, vcc, 0, v1, vcc
	s_waitcnt vmcnt(0)
	global_store_dword v[2:3], v4, off offset:2048
.LBB7_406:
	s_or_b64 exec, exec, s[4:5]
	s_mov_b64 s[4:5], exec
	v_readlane_b32 s38, v63, 20
	v_readlane_b32 s39, v63, 21
	s_and_b64 s[38:39], s[4:5], s[38:39]
	s_mov_b64 exec, s[38:39]
	s_cbranch_execz .LBB7_408
; %bb.407:
	buffer_load_dword v4, off, s[96:99], 0 offset:508 ; 4-byte Folded Reload
	v_add_co_u32_e32 v2, vcc, 0x2000, v0
	v_addc_co_u32_e32 v3, vcc, 0, v1, vcc
	s_waitcnt vmcnt(0)
	global_store_dword v[2:3], v4, off offset:3072
.LBB7_408:
	s_or_b64 exec, exec, s[4:5]
	;; [unrolled: 61-line block ×4, first 2 shown]
	s_mov_b64 s[4:5], exec
	v_readlane_b32 s38, v63, 38
	v_readlane_b32 s39, v63, 39
	s_and_b64 s[38:39], s[4:5], s[38:39]
	s_mov_b64 exec, s[38:39]
	s_cbranch_execz .LBB7_426
; %bb.425:
	buffer_load_dword v2, off, s[96:99], 0 offset:584 ; 4-byte Folded Reload
	buffer_load_dword v3, off, s[96:99], 0 offset:588 ; 4-byte Folded Reload
	v_mov_b32_e32 v4, s37
	s_waitcnt vmcnt(0)
	v_lshlrev_b64 v[2:3], 2, v[2:3]
	v_add_co_u32_e32 v2, vcc, s36, v2
	v_addc_co_u32_e32 v3, vcc, v4, v3, vcc
	buffer_load_dword v4, off, s[96:99], 0 offset:472 ; 4-byte Folded Reload
	s_waitcnt vmcnt(0)
	global_store_dword v[2:3], v4, off
.LBB7_426:
	s_or_b64 exec, exec, s[4:5]
	s_mov_b64 s[4:5], exec
	v_readlane_b32 s38, v63, 40
	v_readlane_b32 s39, v63, 41
	s_and_b64 s[38:39], s[4:5], s[38:39]
	s_mov_b64 exec, s[38:39]
	s_cbranch_execz .LBB7_428
; %bb.427:
	buffer_load_dword v4, off, s[96:99], 0 offset:468 ; 4-byte Folded Reload
	v_add_co_u32_e32 v2, vcc, 0x5000, v0
	v_addc_co_u32_e32 v3, vcc, 0, v1, vcc
	s_waitcnt vmcnt(0)
	global_store_dword v[2:3], v4, off offset:1024
.LBB7_428:
	s_or_b64 exec, exec, s[4:5]
	s_mov_b64 s[4:5], exec
	v_readlane_b32 s38, v63, 42
	v_readlane_b32 s39, v63, 43
	s_and_b64 s[38:39], s[4:5], s[38:39]
	s_mov_b64 exec, s[38:39]
	s_cbranch_execz .LBB7_430
; %bb.429:
	buffer_load_dword v4, off, s[96:99], 0 offset:464 ; 4-byte Folded Reload
	v_add_co_u32_e32 v2, vcc, 0x5000, v0
	v_addc_co_u32_e32 v3, vcc, 0, v1, vcc
	s_waitcnt vmcnt(0)
	global_store_dword v[2:3], v4, off offset:2048
.LBB7_430:
	s_or_b64 exec, exec, s[4:5]
	s_mov_b64 s[4:5], exec
	v_readlane_b32 s38, v63, 44
	v_readlane_b32 s39, v63, 45
	s_and_b64 s[38:39], s[4:5], s[38:39]
	s_mov_b64 exec, s[38:39]
	s_cbranch_execnz .LBB7_473
; %bb.431:
	s_or_b64 exec, exec, s[4:5]
	s_and_saveexec_b64 s[4:5], s[48:49]
	s_cbranch_execnz .LBB7_474
.LBB7_432:
	s_or_b64 exec, exec, s[4:5]
	s_and_saveexec_b64 s[4:5], s[50:51]
	s_cbranch_execnz .LBB7_475
.LBB7_433:
	s_or_b64 exec, exec, s[4:5]
	s_and_saveexec_b64 s[4:5], s[52:53]
	s_cbranch_execnz .LBB7_476
.LBB7_434:
	s_or_b64 exec, exec, s[4:5]
	s_and_saveexec_b64 s[4:5], s[54:55]
	s_cbranch_execnz .LBB7_477
.LBB7_435:
	s_or_b64 exec, exec, s[4:5]
	s_and_saveexec_b64 s[4:5], s[56:57]
	s_cbranch_execnz .LBB7_478
.LBB7_436:
	s_or_b64 exec, exec, s[4:5]
	s_and_saveexec_b64 s[4:5], s[58:59]
	s_cbranch_execnz .LBB7_479
.LBB7_437:
	s_or_b64 exec, exec, s[4:5]
	s_and_saveexec_b64 s[4:5], s[60:61]
	s_cbranch_execnz .LBB7_480
.LBB7_438:
	s_or_b64 exec, exec, s[4:5]
	s_and_saveexec_b64 s[4:5], s[62:63]
	s_cbranch_execnz .LBB7_481
.LBB7_439:
	s_or_b64 exec, exec, s[4:5]
	s_and_saveexec_b64 s[4:5], s[64:65]
	s_cbranch_execnz .LBB7_482
.LBB7_440:
	s_or_b64 exec, exec, s[4:5]
	s_and_saveexec_b64 s[4:5], s[66:67]
	s_cbranch_execnz .LBB7_483
.LBB7_441:
	s_or_b64 exec, exec, s[4:5]
	s_and_saveexec_b64 s[4:5], s[68:69]
	s_cbranch_execnz .LBB7_484
.LBB7_442:
	s_or_b64 exec, exec, s[4:5]
	s_and_saveexec_b64 s[4:5], s[70:71]
	s_cbranch_execnz .LBB7_485
.LBB7_443:
	s_or_b64 exec, exec, s[4:5]
	s_and_saveexec_b64 s[4:5], s[72:73]
	s_cbranch_execnz .LBB7_486
.LBB7_444:
	s_or_b64 exec, exec, s[4:5]
	s_and_saveexec_b64 s[4:5], s[74:75]
	s_cbranch_execnz .LBB7_487
.LBB7_445:
	s_or_b64 exec, exec, s[4:5]
	s_and_saveexec_b64 s[4:5], s[76:77]
	s_cbranch_execnz .LBB7_488
.LBB7_446:
	s_or_b64 exec, exec, s[4:5]
	s_and_saveexec_b64 s[4:5], s[78:79]
	s_cbranch_execnz .LBB7_489
.LBB7_447:
	s_or_b64 exec, exec, s[4:5]
	s_and_saveexec_b64 s[4:5], s[80:81]
	s_cbranch_execnz .LBB7_490
.LBB7_448:
	s_or_b64 exec, exec, s[4:5]
	s_and_saveexec_b64 s[4:5], s[82:83]
	s_cbranch_execnz .LBB7_491
.LBB7_449:
	s_or_b64 exec, exec, s[4:5]
	s_and_saveexec_b64 s[4:5], s[84:85]
	s_cbranch_execnz .LBB7_492
.LBB7_450:
	s_or_b64 exec, exec, s[4:5]
	s_and_saveexec_b64 s[4:5], s[86:87]
	s_cbranch_execnz .LBB7_493
.LBB7_451:
	s_or_b64 exec, exec, s[4:5]
	s_and_saveexec_b64 s[4:5], s[88:89]
	s_cbranch_execnz .LBB7_494
.LBB7_452:
	s_or_b64 exec, exec, s[4:5]
	s_and_saveexec_b64 s[4:5], s[90:91]
	s_cbranch_execnz .LBB7_495
.LBB7_453:
	s_or_b64 exec, exec, s[4:5]
	s_and_saveexec_b64 s[4:5], s[92:93]
	s_cbranch_execnz .LBB7_496
.LBB7_454:
	s_or_b64 exec, exec, s[4:5]
	s_and_saveexec_b64 s[4:5], s[94:95]
	s_cbranch_execnz .LBB7_497
.LBB7_455:
	s_or_b64 exec, exec, s[4:5]
	s_and_saveexec_b64 s[4:5], s[0:1]
	s_cbranch_execnz .LBB7_498
.LBB7_456:
	s_or_b64 exec, exec, s[4:5]
	s_and_saveexec_b64 s[0:1], s[2:3]
	s_cbranch_execnz .LBB7_499
.LBB7_457:
	s_or_b64 exec, exec, s[0:1]
	s_and_saveexec_b64 s[0:1], s[34:35]
	s_cbranch_execnz .LBB7_500
.LBB7_458:
	s_or_b64 exec, exec, s[0:1]
	s_and_saveexec_b64 s[0:1], s[6:7]
	s_cbranch_execnz .LBB7_501
.LBB7_459:
	s_or_b64 exec, exec, s[0:1]
	s_and_saveexec_b64 s[0:1], s[8:9]
	s_cbranch_execnz .LBB7_502
.LBB7_460:
	s_or_b64 exec, exec, s[0:1]
	s_and_saveexec_b64 s[0:1], s[10:11]
	s_cbranch_execnz .LBB7_503
.LBB7_461:
	s_or_b64 exec, exec, s[0:1]
	s_and_saveexec_b64 s[0:1], s[12:13]
	s_cbranch_execnz .LBB7_504
.LBB7_462:
	s_or_b64 exec, exec, s[0:1]
	s_and_saveexec_b64 s[0:1], s[14:15]
	s_cbranch_execnz .LBB7_505
.LBB7_463:
	s_or_b64 exec, exec, s[0:1]
	s_and_saveexec_b64 s[0:1], s[16:17]
	s_cbranch_execnz .LBB7_506
.LBB7_464:
	s_or_b64 exec, exec, s[0:1]
	s_and_saveexec_b64 s[0:1], s[18:19]
	s_cbranch_execnz .LBB7_507
.LBB7_465:
	s_or_b64 exec, exec, s[0:1]
	s_and_saveexec_b64 s[0:1], s[20:21]
	s_cbranch_execnz .LBB7_508
.LBB7_466:
	s_or_b64 exec, exec, s[0:1]
	s_and_saveexec_b64 s[0:1], s[22:23]
	s_cbranch_execnz .LBB7_509
.LBB7_467:
	s_or_b64 exec, exec, s[0:1]
	s_and_saveexec_b64 s[0:1], s[24:25]
	s_cbranch_execnz .LBB7_510
.LBB7_468:
	s_or_b64 exec, exec, s[0:1]
	s_and_saveexec_b64 s[0:1], s[26:27]
	s_cbranch_execnz .LBB7_511
.LBB7_469:
	s_or_b64 exec, exec, s[0:1]
	s_and_saveexec_b64 s[0:1], s[28:29]
	s_cbranch_execnz .LBB7_512
.LBB7_470:
	s_or_b64 exec, exec, s[0:1]
	s_and_b64 exec, exec, s[30:31]
	s_cbranch_execz .LBB7_472
.LBB7_471:
	buffer_load_dword v2, off, s[96:99], 0 offset:300 ; 4-byte Folded Reload
	v_add_co_u32_e32 v0, vcc, 0xf000, v0
	v_addc_co_u32_e32 v1, vcc, 0, v1, vcc
	s_waitcnt vmcnt(0)
	global_store_dword v[0:1], v2, off offset:3072
.LBB7_472:
	s_endpgm
.LBB7_473:
	buffer_load_dword v4, off, s[96:99], 0 offset:460 ; 4-byte Folded Reload
	v_add_co_u32_e32 v2, vcc, 0x5000, v0
	v_addc_co_u32_e32 v3, vcc, 0, v1, vcc
	s_waitcnt vmcnt(0)
	global_store_dword v[2:3], v4, off offset:3072
	s_or_b64 exec, exec, s[4:5]
	s_and_saveexec_b64 s[4:5], s[48:49]
	s_cbranch_execz .LBB7_432
.LBB7_474:
	buffer_load_dword v2, off, s[96:99], 0 offset:592 ; 4-byte Folded Reload
	buffer_load_dword v3, off, s[96:99], 0 offset:596 ; 4-byte Folded Reload
	v_mov_b32_e32 v4, s37
	s_waitcnt vmcnt(0)
	v_lshlrev_b64 v[2:3], 2, v[2:3]
	v_add_co_u32_e32 v2, vcc, s36, v2
	v_addc_co_u32_e32 v3, vcc, v4, v3, vcc
	buffer_load_dword v4, off, s[96:99], 0 offset:456 ; 4-byte Folded Reload
	s_waitcnt vmcnt(0)
	global_store_dword v[2:3], v4, off
	s_or_b64 exec, exec, s[4:5]
	s_and_saveexec_b64 s[4:5], s[50:51]
	s_cbranch_execz .LBB7_433
.LBB7_475:
	buffer_load_dword v4, off, s[96:99], 0 offset:452 ; 4-byte Folded Reload
	v_add_co_u32_e32 v2, vcc, 0x6000, v0
	v_addc_co_u32_e32 v3, vcc, 0, v1, vcc
	s_waitcnt vmcnt(0)
	global_store_dword v[2:3], v4, off offset:1024
	s_or_b64 exec, exec, s[4:5]
	s_and_saveexec_b64 s[4:5], s[52:53]
	s_cbranch_execz .LBB7_434
.LBB7_476:
	buffer_load_dword v4, off, s[96:99], 0 offset:448 ; 4-byte Folded Reload
	v_add_co_u32_e32 v2, vcc, 0x6000, v0
	v_addc_co_u32_e32 v3, vcc, 0, v1, vcc
	s_waitcnt vmcnt(0)
	global_store_dword v[2:3], v4, off offset:2048
	s_or_b64 exec, exec, s[4:5]
	s_and_saveexec_b64 s[4:5], s[54:55]
	s_cbranch_execz .LBB7_435
.LBB7_477:
	buffer_load_dword v4, off, s[96:99], 0 offset:444 ; 4-byte Folded Reload
	v_add_co_u32_e32 v2, vcc, 0x6000, v0
	v_addc_co_u32_e32 v3, vcc, 0, v1, vcc
	s_waitcnt vmcnt(0)
	global_store_dword v[2:3], v4, off offset:3072
	s_or_b64 exec, exec, s[4:5]
	s_and_saveexec_b64 s[4:5], s[56:57]
	s_cbranch_execz .LBB7_436
.LBB7_478:
	buffer_load_dword v2, off, s[96:99], 0 offset:600 ; 4-byte Folded Reload
	buffer_load_dword v3, off, s[96:99], 0 offset:604 ; 4-byte Folded Reload
	v_mov_b32_e32 v4, s37
	s_waitcnt vmcnt(0)
	v_lshlrev_b64 v[2:3], 2, v[2:3]
	v_add_co_u32_e32 v2, vcc, s36, v2
	v_addc_co_u32_e32 v3, vcc, v4, v3, vcc
	buffer_load_dword v4, off, s[96:99], 0 offset:440 ; 4-byte Folded Reload
	s_waitcnt vmcnt(0)
	global_store_dword v[2:3], v4, off
	s_or_b64 exec, exec, s[4:5]
	s_and_saveexec_b64 s[4:5], s[58:59]
	s_cbranch_execz .LBB7_437
.LBB7_479:
	buffer_load_dword v4, off, s[96:99], 0 offset:436 ; 4-byte Folded Reload
	v_add_co_u32_e32 v2, vcc, 0x7000, v0
	v_addc_co_u32_e32 v3, vcc, 0, v1, vcc
	s_waitcnt vmcnt(0)
	global_store_dword v[2:3], v4, off offset:1024
	s_or_b64 exec, exec, s[4:5]
	s_and_saveexec_b64 s[4:5], s[60:61]
	s_cbranch_execz .LBB7_438
.LBB7_480:
	buffer_load_dword v4, off, s[96:99], 0 offset:432 ; 4-byte Folded Reload
	v_add_co_u32_e32 v2, vcc, 0x7000, v0
	v_addc_co_u32_e32 v3, vcc, 0, v1, vcc
	s_waitcnt vmcnt(0)
	global_store_dword v[2:3], v4, off offset:2048
	s_or_b64 exec, exec, s[4:5]
	s_and_saveexec_b64 s[4:5], s[62:63]
	s_cbranch_execz .LBB7_439
.LBB7_481:
	buffer_load_dword v4, off, s[96:99], 0 offset:428 ; 4-byte Folded Reload
	v_add_co_u32_e32 v2, vcc, 0x7000, v0
	v_addc_co_u32_e32 v3, vcc, 0, v1, vcc
	s_waitcnt vmcnt(0)
	global_store_dword v[2:3], v4, off offset:3072
	s_or_b64 exec, exec, s[4:5]
	s_and_saveexec_b64 s[4:5], s[64:65]
	s_cbranch_execz .LBB7_440
.LBB7_482:
	buffer_load_dword v2, off, s[96:99], 0 offset:608 ; 4-byte Folded Reload
	buffer_load_dword v3, off, s[96:99], 0 offset:612 ; 4-byte Folded Reload
	v_mov_b32_e32 v4, s37
	s_waitcnt vmcnt(0)
	v_lshlrev_b64 v[2:3], 2, v[2:3]
	v_add_co_u32_e32 v2, vcc, s36, v2
	v_addc_co_u32_e32 v3, vcc, v4, v3, vcc
	buffer_load_dword v4, off, s[96:99], 0 offset:424 ; 4-byte Folded Reload
	s_waitcnt vmcnt(0)
	global_store_dword v[2:3], v4, off
	s_or_b64 exec, exec, s[4:5]
	s_and_saveexec_b64 s[4:5], s[66:67]
	s_cbranch_execz .LBB7_441
.LBB7_483:
	buffer_load_dword v4, off, s[96:99], 0 offset:420 ; 4-byte Folded Reload
	v_add_co_u32_e32 v2, vcc, 0x8000, v0
	v_addc_co_u32_e32 v3, vcc, 0, v1, vcc
	s_waitcnt vmcnt(0)
	global_store_dword v[2:3], v4, off offset:1024
	s_or_b64 exec, exec, s[4:5]
	s_and_saveexec_b64 s[4:5], s[68:69]
	s_cbranch_execz .LBB7_442
.LBB7_484:
	buffer_load_dword v4, off, s[96:99], 0 offset:416 ; 4-byte Folded Reload
	v_add_co_u32_e32 v2, vcc, 0x8000, v0
	v_addc_co_u32_e32 v3, vcc, 0, v1, vcc
	s_waitcnt vmcnt(0)
	global_store_dword v[2:3], v4, off offset:2048
	s_or_b64 exec, exec, s[4:5]
	s_and_saveexec_b64 s[4:5], s[70:71]
	s_cbranch_execz .LBB7_443
.LBB7_485:
	buffer_load_dword v4, off, s[96:99], 0 offset:412 ; 4-byte Folded Reload
	v_add_co_u32_e32 v2, vcc, 0x8000, v0
	v_addc_co_u32_e32 v3, vcc, 0, v1, vcc
	s_waitcnt vmcnt(0)
	global_store_dword v[2:3], v4, off offset:3072
	s_or_b64 exec, exec, s[4:5]
	s_and_saveexec_b64 s[4:5], s[72:73]
	s_cbranch_execz .LBB7_444
.LBB7_486:
	buffer_load_dword v2, off, s[96:99], 0 offset:616 ; 4-byte Folded Reload
	buffer_load_dword v3, off, s[96:99], 0 offset:620 ; 4-byte Folded Reload
	v_mov_b32_e32 v4, s37
	s_waitcnt vmcnt(0)
	v_lshlrev_b64 v[2:3], 2, v[2:3]
	v_add_co_u32_e32 v2, vcc, s36, v2
	v_addc_co_u32_e32 v3, vcc, v4, v3, vcc
	buffer_load_dword v4, off, s[96:99], 0 offset:408 ; 4-byte Folded Reload
	s_waitcnt vmcnt(0)
	global_store_dword v[2:3], v4, off
	s_or_b64 exec, exec, s[4:5]
	s_and_saveexec_b64 s[4:5], s[74:75]
	s_cbranch_execz .LBB7_445
.LBB7_487:
	buffer_load_dword v4, off, s[96:99], 0 offset:404 ; 4-byte Folded Reload
	v_add_co_u32_e32 v2, vcc, 0x9000, v0
	v_addc_co_u32_e32 v3, vcc, 0, v1, vcc
	s_waitcnt vmcnt(0)
	global_store_dword v[2:3], v4, off offset:1024
	s_or_b64 exec, exec, s[4:5]
	s_and_saveexec_b64 s[4:5], s[76:77]
	s_cbranch_execz .LBB7_446
.LBB7_488:
	buffer_load_dword v4, off, s[96:99], 0 offset:400 ; 4-byte Folded Reload
	v_add_co_u32_e32 v2, vcc, 0x9000, v0
	v_addc_co_u32_e32 v3, vcc, 0, v1, vcc
	s_waitcnt vmcnt(0)
	global_store_dword v[2:3], v4, off offset:2048
	s_or_b64 exec, exec, s[4:5]
	s_and_saveexec_b64 s[4:5], s[78:79]
	s_cbranch_execz .LBB7_447
.LBB7_489:
	buffer_load_dword v4, off, s[96:99], 0 offset:396 ; 4-byte Folded Reload
	v_add_co_u32_e32 v2, vcc, 0x9000, v0
	v_addc_co_u32_e32 v3, vcc, 0, v1, vcc
	s_waitcnt vmcnt(0)
	global_store_dword v[2:3], v4, off offset:3072
	s_or_b64 exec, exec, s[4:5]
	s_and_saveexec_b64 s[4:5], s[80:81]
	s_cbranch_execz .LBB7_448
.LBB7_490:
	buffer_load_dword v2, off, s[96:99], 0 offset:624 ; 4-byte Folded Reload
	buffer_load_dword v3, off, s[96:99], 0 offset:628 ; 4-byte Folded Reload
	v_mov_b32_e32 v4, s37
	s_waitcnt vmcnt(0)
	v_lshlrev_b64 v[2:3], 2, v[2:3]
	v_add_co_u32_e32 v2, vcc, s36, v2
	v_addc_co_u32_e32 v3, vcc, v4, v3, vcc
	buffer_load_dword v4, off, s[96:99], 0 offset:392 ; 4-byte Folded Reload
	s_waitcnt vmcnt(0)
	global_store_dword v[2:3], v4, off
	s_or_b64 exec, exec, s[4:5]
	s_and_saveexec_b64 s[4:5], s[82:83]
	s_cbranch_execz .LBB7_449
.LBB7_491:
	buffer_load_dword v4, off, s[96:99], 0 offset:388 ; 4-byte Folded Reload
	v_add_co_u32_e32 v2, vcc, 0xa000, v0
	v_addc_co_u32_e32 v3, vcc, 0, v1, vcc
	s_waitcnt vmcnt(0)
	global_store_dword v[2:3], v4, off offset:1024
	s_or_b64 exec, exec, s[4:5]
	s_and_saveexec_b64 s[4:5], s[84:85]
	s_cbranch_execz .LBB7_450
.LBB7_492:
	buffer_load_dword v4, off, s[96:99], 0 offset:384 ; 4-byte Folded Reload
	v_add_co_u32_e32 v2, vcc, 0xa000, v0
	v_addc_co_u32_e32 v3, vcc, 0, v1, vcc
	s_waitcnt vmcnt(0)
	global_store_dword v[2:3], v4, off offset:2048
	s_or_b64 exec, exec, s[4:5]
	s_and_saveexec_b64 s[4:5], s[86:87]
	s_cbranch_execz .LBB7_451
.LBB7_493:
	buffer_load_dword v4, off, s[96:99], 0 offset:380 ; 4-byte Folded Reload
	v_add_co_u32_e32 v2, vcc, 0xa000, v0
	v_addc_co_u32_e32 v3, vcc, 0, v1, vcc
	s_waitcnt vmcnt(0)
	global_store_dword v[2:3], v4, off offset:3072
	s_or_b64 exec, exec, s[4:5]
	s_and_saveexec_b64 s[4:5], s[88:89]
	s_cbranch_execz .LBB7_452
.LBB7_494:
	buffer_load_dword v2, off, s[96:99], 0 offset:632 ; 4-byte Folded Reload
	buffer_load_dword v3, off, s[96:99], 0 offset:636 ; 4-byte Folded Reload
	v_mov_b32_e32 v4, s37
	s_waitcnt vmcnt(0)
	v_lshlrev_b64 v[2:3], 2, v[2:3]
	v_add_co_u32_e32 v2, vcc, s36, v2
	v_addc_co_u32_e32 v3, vcc, v4, v3, vcc
	buffer_load_dword v4, off, s[96:99], 0 offset:376 ; 4-byte Folded Reload
	s_waitcnt vmcnt(0)
	global_store_dword v[2:3], v4, off
	s_or_b64 exec, exec, s[4:5]
	s_and_saveexec_b64 s[4:5], s[90:91]
	s_cbranch_execz .LBB7_453
.LBB7_495:
	buffer_load_dword v4, off, s[96:99], 0 offset:372 ; 4-byte Folded Reload
	v_add_co_u32_e32 v2, vcc, 0xb000, v0
	v_addc_co_u32_e32 v3, vcc, 0, v1, vcc
	s_waitcnt vmcnt(0)
	global_store_dword v[2:3], v4, off offset:1024
	s_or_b64 exec, exec, s[4:5]
	s_and_saveexec_b64 s[4:5], s[92:93]
	s_cbranch_execz .LBB7_454
.LBB7_496:
	buffer_load_dword v4, off, s[96:99], 0 offset:368 ; 4-byte Folded Reload
	v_add_co_u32_e32 v2, vcc, 0xb000, v0
	v_addc_co_u32_e32 v3, vcc, 0, v1, vcc
	s_waitcnt vmcnt(0)
	global_store_dword v[2:3], v4, off offset:2048
	s_or_b64 exec, exec, s[4:5]
	s_and_saveexec_b64 s[4:5], s[94:95]
	s_cbranch_execz .LBB7_455
.LBB7_497:
	buffer_load_dword v4, off, s[96:99], 0 offset:364 ; 4-byte Folded Reload
	v_add_co_u32_e32 v2, vcc, 0xb000, v0
	v_addc_co_u32_e32 v3, vcc, 0, v1, vcc
	s_waitcnt vmcnt(0)
	global_store_dword v[2:3], v4, off offset:3072
	s_or_b64 exec, exec, s[4:5]
	s_and_saveexec_b64 s[4:5], s[0:1]
	s_cbranch_execz .LBB7_456
.LBB7_498:
	buffer_load_dword v2, off, s[96:99], 0 offset:640 ; 4-byte Folded Reload
	buffer_load_dword v3, off, s[96:99], 0 offset:644 ; 4-byte Folded Reload
	v_mov_b32_e32 v4, s37
	s_waitcnt vmcnt(0)
	v_lshlrev_b64 v[2:3], 2, v[2:3]
	v_add_co_u32_e32 v2, vcc, s36, v2
	v_addc_co_u32_e32 v3, vcc, v4, v3, vcc
	buffer_load_dword v4, off, s[96:99], 0 offset:360 ; 4-byte Folded Reload
	s_waitcnt vmcnt(0)
	global_store_dword v[2:3], v4, off
	s_or_b64 exec, exec, s[4:5]
	s_and_saveexec_b64 s[0:1], s[2:3]
	s_cbranch_execz .LBB7_457
.LBB7_499:
	buffer_load_dword v4, off, s[96:99], 0 offset:356 ; 4-byte Folded Reload
	v_add_co_u32_e32 v2, vcc, 0xc000, v0
	v_addc_co_u32_e32 v3, vcc, 0, v1, vcc
	s_waitcnt vmcnt(0)
	global_store_dword v[2:3], v4, off offset:1024
	s_or_b64 exec, exec, s[0:1]
	s_and_saveexec_b64 s[0:1], s[34:35]
	s_cbranch_execz .LBB7_458
.LBB7_500:
	buffer_load_dword v4, off, s[96:99], 0 offset:352 ; 4-byte Folded Reload
	v_add_co_u32_e32 v2, vcc, 0xc000, v0
	v_addc_co_u32_e32 v3, vcc, 0, v1, vcc
	s_waitcnt vmcnt(0)
	global_store_dword v[2:3], v4, off offset:2048
	s_or_b64 exec, exec, s[0:1]
	s_and_saveexec_b64 s[0:1], s[6:7]
	s_cbranch_execz .LBB7_459
.LBB7_501:
	buffer_load_dword v4, off, s[96:99], 0 offset:348 ; 4-byte Folded Reload
	v_add_co_u32_e32 v2, vcc, 0xc000, v0
	v_addc_co_u32_e32 v3, vcc, 0, v1, vcc
	s_waitcnt vmcnt(0)
	global_store_dword v[2:3], v4, off offset:3072
	s_or_b64 exec, exec, s[0:1]
	s_and_saveexec_b64 s[0:1], s[8:9]
	s_cbranch_execz .LBB7_460
.LBB7_502:
	buffer_load_dword v2, off, s[96:99], 0 offset:648 ; 4-byte Folded Reload
	buffer_load_dword v3, off, s[96:99], 0 offset:652 ; 4-byte Folded Reload
	v_mov_b32_e32 v4, s37
	s_waitcnt vmcnt(0)
	v_lshlrev_b64 v[2:3], 2, v[2:3]
	v_add_co_u32_e32 v2, vcc, s36, v2
	v_addc_co_u32_e32 v3, vcc, v4, v3, vcc
	buffer_load_dword v4, off, s[96:99], 0 offset:344 ; 4-byte Folded Reload
	s_waitcnt vmcnt(0)
	global_store_dword v[2:3], v4, off
	s_or_b64 exec, exec, s[0:1]
	s_and_saveexec_b64 s[0:1], s[10:11]
	s_cbranch_execz .LBB7_461
.LBB7_503:
	buffer_load_dword v4, off, s[96:99], 0 offset:340 ; 4-byte Folded Reload
	v_add_co_u32_e32 v2, vcc, 0xd000, v0
	v_addc_co_u32_e32 v3, vcc, 0, v1, vcc
	s_waitcnt vmcnt(0)
	global_store_dword v[2:3], v4, off offset:1024
	s_or_b64 exec, exec, s[0:1]
	s_and_saveexec_b64 s[0:1], s[12:13]
	s_cbranch_execz .LBB7_462
.LBB7_504:
	buffer_load_dword v4, off, s[96:99], 0 offset:336 ; 4-byte Folded Reload
	v_add_co_u32_e32 v2, vcc, 0xd000, v0
	v_addc_co_u32_e32 v3, vcc, 0, v1, vcc
	s_waitcnt vmcnt(0)
	global_store_dword v[2:3], v4, off offset:2048
	s_or_b64 exec, exec, s[0:1]
	s_and_saveexec_b64 s[0:1], s[14:15]
	s_cbranch_execz .LBB7_463
.LBB7_505:
	buffer_load_dword v4, off, s[96:99], 0 offset:332 ; 4-byte Folded Reload
	v_add_co_u32_e32 v2, vcc, 0xd000, v0
	v_addc_co_u32_e32 v3, vcc, 0, v1, vcc
	s_waitcnt vmcnt(0)
	global_store_dword v[2:3], v4, off offset:3072
	s_or_b64 exec, exec, s[0:1]
	s_and_saveexec_b64 s[0:1], s[16:17]
	s_cbranch_execz .LBB7_464
.LBB7_506:
	buffer_load_dword v2, off, s[96:99], 0 offset:656 ; 4-byte Folded Reload
	buffer_load_dword v3, off, s[96:99], 0 offset:660 ; 4-byte Folded Reload
	v_mov_b32_e32 v4, s37
	s_waitcnt vmcnt(0)
	v_lshlrev_b64 v[2:3], 2, v[2:3]
	v_add_co_u32_e32 v2, vcc, s36, v2
	v_addc_co_u32_e32 v3, vcc, v4, v3, vcc
	buffer_load_dword v4, off, s[96:99], 0 offset:328 ; 4-byte Folded Reload
	s_waitcnt vmcnt(0)
	global_store_dword v[2:3], v4, off
	s_or_b64 exec, exec, s[0:1]
	s_and_saveexec_b64 s[0:1], s[18:19]
	s_cbranch_execz .LBB7_465
.LBB7_507:
	buffer_load_dword v4, off, s[96:99], 0 offset:324 ; 4-byte Folded Reload
	v_add_co_u32_e32 v2, vcc, 0xe000, v0
	v_addc_co_u32_e32 v3, vcc, 0, v1, vcc
	s_waitcnt vmcnt(0)
	global_store_dword v[2:3], v4, off offset:1024
	s_or_b64 exec, exec, s[0:1]
	s_and_saveexec_b64 s[0:1], s[20:21]
	s_cbranch_execz .LBB7_466
.LBB7_508:
	buffer_load_dword v4, off, s[96:99], 0 offset:320 ; 4-byte Folded Reload
	v_add_co_u32_e32 v2, vcc, 0xe000, v0
	v_addc_co_u32_e32 v3, vcc, 0, v1, vcc
	s_waitcnt vmcnt(0)
	global_store_dword v[2:3], v4, off offset:2048
	s_or_b64 exec, exec, s[0:1]
	s_and_saveexec_b64 s[0:1], s[22:23]
	s_cbranch_execz .LBB7_467
.LBB7_509:
	buffer_load_dword v4, off, s[96:99], 0 offset:316 ; 4-byte Folded Reload
	v_add_co_u32_e32 v2, vcc, 0xe000, v0
	v_addc_co_u32_e32 v3, vcc, 0, v1, vcc
	s_waitcnt vmcnt(0)
	global_store_dword v[2:3], v4, off offset:3072
	s_or_b64 exec, exec, s[0:1]
	s_and_saveexec_b64 s[0:1], s[24:25]
	s_cbranch_execz .LBB7_468
.LBB7_510:
	buffer_load_dword v2, off, s[96:99], 0 offset:664 ; 4-byte Folded Reload
	buffer_load_dword v3, off, s[96:99], 0 offset:668 ; 4-byte Folded Reload
	v_mov_b32_e32 v4, s37
	s_waitcnt vmcnt(0)
	v_lshlrev_b64 v[2:3], 2, v[2:3]
	v_add_co_u32_e32 v2, vcc, s36, v2
	v_addc_co_u32_e32 v3, vcc, v4, v3, vcc
	buffer_load_dword v4, off, s[96:99], 0 offset:312 ; 4-byte Folded Reload
	s_waitcnt vmcnt(0)
	global_store_dword v[2:3], v4, off
	s_or_b64 exec, exec, s[0:1]
	s_and_saveexec_b64 s[0:1], s[26:27]
	s_cbranch_execz .LBB7_469
.LBB7_511:
	buffer_load_dword v4, off, s[96:99], 0 offset:308 ; 4-byte Folded Reload
	v_add_co_u32_e32 v2, vcc, 0xf000, v0
	v_addc_co_u32_e32 v3, vcc, 0, v1, vcc
	s_waitcnt vmcnt(0)
	global_store_dword v[2:3], v4, off offset:1024
	s_or_b64 exec, exec, s[0:1]
	s_and_saveexec_b64 s[0:1], s[28:29]
	s_cbranch_execz .LBB7_470
.LBB7_512:
	buffer_load_dword v4, off, s[96:99], 0 offset:304 ; 4-byte Folded Reload
	v_add_co_u32_e32 v2, vcc, 0xf000, v0
	v_addc_co_u32_e32 v3, vcc, 0, v1, vcc
	s_waitcnt vmcnt(0)
	global_store_dword v[2:3], v4, off offset:2048
	s_or_b64 exec, exec, s[0:1]
	s_and_b64 exec, exec, s[30:31]
	s_cbranch_execnz .LBB7_471
	s_branch .LBB7_472
	.section	.rodata,"a",@progbits
	.p2align	6, 0x0
	.amdhsa_kernel _Z10pnpoly_optILi64EEvPiPK15HIP_vector_typeIfLj2EES4_i
		.amdhsa_group_segment_fixed_size 0
		.amdhsa_private_segment_fixed_size 676
		.amdhsa_kernarg_size 28
		.amdhsa_user_sgpr_count 6
		.amdhsa_user_sgpr_private_segment_buffer 1
		.amdhsa_user_sgpr_dispatch_ptr 0
		.amdhsa_user_sgpr_queue_ptr 0
		.amdhsa_user_sgpr_kernarg_segment_ptr 1
		.amdhsa_user_sgpr_dispatch_id 0
		.amdhsa_user_sgpr_flat_scratch_init 0
		.amdhsa_user_sgpr_private_segment_size 0
		.amdhsa_uses_dynamic_stack 0
		.amdhsa_system_sgpr_private_segment_wavefront_offset 1
		.amdhsa_system_sgpr_workgroup_id_x 1
		.amdhsa_system_sgpr_workgroup_id_y 0
		.amdhsa_system_sgpr_workgroup_id_z 0
		.amdhsa_system_sgpr_workgroup_info 0
		.amdhsa_system_vgpr_workitem_id 0
		.amdhsa_next_free_vgpr 64
		.amdhsa_next_free_sgpr 100
		.amdhsa_reserve_vcc 1
		.amdhsa_reserve_flat_scratch 0
		.amdhsa_float_round_mode_32 0
		.amdhsa_float_round_mode_16_64 0
		.amdhsa_float_denorm_mode_32 3
		.amdhsa_float_denorm_mode_16_64 3
		.amdhsa_dx10_clamp 1
		.amdhsa_ieee_mode 1
		.amdhsa_fp16_overflow 0
		.amdhsa_exception_fp_ieee_invalid_op 0
		.amdhsa_exception_fp_denorm_src 0
		.amdhsa_exception_fp_ieee_div_zero 0
		.amdhsa_exception_fp_ieee_overflow 0
		.amdhsa_exception_fp_ieee_underflow 0
		.amdhsa_exception_fp_ieee_inexact 0
		.amdhsa_exception_int_div_zero 0
	.end_amdhsa_kernel
	.section	.text._Z10pnpoly_optILi64EEvPiPK15HIP_vector_typeIfLj2EES4_i,"axG",@progbits,_Z10pnpoly_optILi64EEvPiPK15HIP_vector_typeIfLj2EES4_i,comdat
.Lfunc_end7:
	.size	_Z10pnpoly_optILi64EEvPiPK15HIP_vector_typeIfLj2EES4_i, .Lfunc_end7-_Z10pnpoly_optILi64EEvPiPK15HIP_vector_typeIfLj2EES4_i
                                        ; -- End function
	.set _Z10pnpoly_optILi64EEvPiPK15HIP_vector_typeIfLj2EES4_i.num_vgpr, 64
	.set _Z10pnpoly_optILi64EEvPiPK15HIP_vector_typeIfLj2EES4_i.num_agpr, 0
	.set _Z10pnpoly_optILi64EEvPiPK15HIP_vector_typeIfLj2EES4_i.numbered_sgpr, 100
	.set _Z10pnpoly_optILi64EEvPiPK15HIP_vector_typeIfLj2EES4_i.num_named_barrier, 0
	.set _Z10pnpoly_optILi64EEvPiPK15HIP_vector_typeIfLj2EES4_i.private_seg_size, 676
	.set _Z10pnpoly_optILi64EEvPiPK15HIP_vector_typeIfLj2EES4_i.uses_vcc, 1
	.set _Z10pnpoly_optILi64EEvPiPK15HIP_vector_typeIfLj2EES4_i.uses_flat_scratch, 0
	.set _Z10pnpoly_optILi64EEvPiPK15HIP_vector_typeIfLj2EES4_i.has_dyn_sized_stack, 0
	.set _Z10pnpoly_optILi64EEvPiPK15HIP_vector_typeIfLj2EES4_i.has_recursion, 0
	.set _Z10pnpoly_optILi64EEvPiPK15HIP_vector_typeIfLj2EES4_i.has_indirect_call, 0
	.section	.AMDGPU.csdata,"",@progbits
; Kernel info:
; codeLenInByte = 18548
; TotalNumSgprs: 104
; NumVgprs: 64
; ScratchSize: 676
; MemoryBound: 0
; FloatMode: 240
; IeeeMode: 1
; LDSByteSize: 0 bytes/workgroup (compile time only)
; SGPRBlocks: 12
; VGPRBlocks: 15
; NumSGPRsForWavesPerEU: 104
; NumVGPRsForWavesPerEU: 64
; Occupancy: 4
; WaveLimiterHint : 0
; COMPUTE_PGM_RSRC2:SCRATCH_EN: 1
; COMPUTE_PGM_RSRC2:USER_SGPR: 6
; COMPUTE_PGM_RSRC2:TRAP_HANDLER: 0
; COMPUTE_PGM_RSRC2:TGID_X_EN: 1
; COMPUTE_PGM_RSRC2:TGID_Y_EN: 0
; COMPUTE_PGM_RSRC2:TGID_Z_EN: 0
; COMPUTE_PGM_RSRC2:TIDIG_COMP_CNT: 0
	.section	.AMDGPU.gpr_maximums,"",@progbits
	.set amdgpu.max_num_vgpr, 0
	.set amdgpu.max_num_agpr, 0
	.set amdgpu.max_num_sgpr, 0
	.section	.AMDGPU.csdata,"",@progbits
	.type	__hip_cuid_75db95c53206a11e,@object ; @__hip_cuid_75db95c53206a11e
	.section	.bss,"aw",@nobits
	.globl	__hip_cuid_75db95c53206a11e
__hip_cuid_75db95c53206a11e:
	.byte	0                               ; 0x0
	.size	__hip_cuid_75db95c53206a11e, 1

	.ident	"AMD clang version 22.0.0git (https://github.com/RadeonOpenCompute/llvm-project roc-7.2.4 26084 f58b06dce1f9c15707c5f808fd002e18c2accf7e)"
	.section	".note.GNU-stack","",@progbits
	.addrsig
	.addrsig_sym __hip_cuid_75db95c53206a11e
	.amdgpu_metadata
---
amdhsa.kernels:
  - .args:
      - .actual_access:  write_only
        .address_space:  global
        .offset:         0
        .size:           8
        .value_kind:     global_buffer
      - .actual_access:  read_only
        .address_space:  global
        .offset:         8
        .size:           8
        .value_kind:     global_buffer
      - .actual_access:  read_only
        .address_space:  global
        .offset:         16
        .size:           8
        .value_kind:     global_buffer
      - .offset:         24
        .size:           4
        .value_kind:     by_value
      - .offset:         32
        .size:           4
        .value_kind:     hidden_block_count_x
      - .offset:         36
        .size:           4
        .value_kind:     hidden_block_count_y
      - .offset:         40
        .size:           4
        .value_kind:     hidden_block_count_z
      - .offset:         44
        .size:           2
        .value_kind:     hidden_group_size_x
      - .offset:         46
        .size:           2
        .value_kind:     hidden_group_size_y
      - .offset:         48
        .size:           2
        .value_kind:     hidden_group_size_z
      - .offset:         50
        .size:           2
        .value_kind:     hidden_remainder_x
      - .offset:         52
        .size:           2
        .value_kind:     hidden_remainder_y
      - .offset:         54
        .size:           2
        .value_kind:     hidden_remainder_z
      - .offset:         72
        .size:           8
        .value_kind:     hidden_global_offset_x
      - .offset:         80
        .size:           8
        .value_kind:     hidden_global_offset_y
      - .offset:         88
        .size:           8
        .value_kind:     hidden_global_offset_z
      - .offset:         96
        .size:           2
        .value_kind:     hidden_grid_dims
    .group_segment_fixed_size: 0
    .kernarg_segment_align: 8
    .kernarg_segment_size: 288
    .language:       OpenCL C
    .language_version:
      - 2
      - 0
    .max_flat_workgroup_size: 1024
    .name:           _Z11pnpoly_basePiPK15HIP_vector_typeIfLj2EES3_i
    .private_segment_fixed_size: 0
    .sgpr_count:     22
    .sgpr_spill_count: 0
    .symbol:         _Z11pnpoly_basePiPK15HIP_vector_typeIfLj2EES3_i.kd
    .uniform_work_group_size: 1
    .uses_dynamic_stack: false
    .vgpr_count:     12
    .vgpr_spill_count: 0
    .wavefront_size: 64
  - .args:
      - .actual_access:  write_only
        .address_space:  global
        .offset:         0
        .size:           8
        .value_kind:     global_buffer
      - .actual_access:  read_only
        .address_space:  global
        .offset:         8
        .size:           8
        .value_kind:     global_buffer
      - .actual_access:  read_only
        .address_space:  global
        .offset:         16
        .size:           8
        .value_kind:     global_buffer
      - .offset:         24
        .size:           4
        .value_kind:     by_value
    .group_segment_fixed_size: 0
    .kernarg_segment_align: 8
    .kernarg_segment_size: 28
    .language:       OpenCL C
    .language_version:
      - 2
      - 0
    .max_flat_workgroup_size: 1024
    .name:           _Z10pnpoly_optILi1EEvPiPK15HIP_vector_typeIfLj2EES4_i
    .private_segment_fixed_size: 0
    .sgpr_count:     32
    .sgpr_spill_count: 0
    .symbol:         _Z10pnpoly_optILi1EEvPiPK15HIP_vector_typeIfLj2EES4_i.kd
    .uniform_work_group_size: 1
    .uses_dynamic_stack: false
    .vgpr_count:     24
    .vgpr_spill_count: 0
    .wavefront_size: 64
  - .args:
      - .actual_access:  write_only
        .address_space:  global
        .offset:         0
        .size:           8
        .value_kind:     global_buffer
      - .actual_access:  read_only
        .address_space:  global
        .offset:         8
        .size:           8
        .value_kind:     global_buffer
      - .actual_access:  read_only
        .address_space:  global
        .offset:         16
        .size:           8
        .value_kind:     global_buffer
      - .offset:         24
        .size:           4
        .value_kind:     by_value
    .group_segment_fixed_size: 0
    .kernarg_segment_align: 8
    .kernarg_segment_size: 28
    .language:       OpenCL C
    .language_version:
      - 2
      - 0
    .max_flat_workgroup_size: 1024
    .name:           _Z10pnpoly_optILi2EEvPiPK15HIP_vector_typeIfLj2EES4_i
    .private_segment_fixed_size: 0
    .sgpr_count:     22
    .sgpr_spill_count: 0
    .symbol:         _Z10pnpoly_optILi2EEvPiPK15HIP_vector_typeIfLj2EES4_i.kd
    .uniform_work_group_size: 1
    .uses_dynamic_stack: false
    .vgpr_count:     15
    .vgpr_spill_count: 0
    .wavefront_size: 64
  - .args:
      - .actual_access:  write_only
        .address_space:  global
        .offset:         0
        .size:           8
        .value_kind:     global_buffer
      - .actual_access:  read_only
        .address_space:  global
        .offset:         8
        .size:           8
        .value_kind:     global_buffer
      - .actual_access:  read_only
        .address_space:  global
        .offset:         16
        .size:           8
        .value_kind:     global_buffer
      - .offset:         24
        .size:           4
        .value_kind:     by_value
    .group_segment_fixed_size: 0
    .kernarg_segment_align: 8
    .kernarg_segment_size: 28
    .language:       OpenCL C
    .language_version:
      - 2
      - 0
    .max_flat_workgroup_size: 1024
    .name:           _Z10pnpoly_optILi4EEvPiPK15HIP_vector_typeIfLj2EES4_i
    .private_segment_fixed_size: 0
    .sgpr_count:     24
    .sgpr_spill_count: 0
    .symbol:         _Z10pnpoly_optILi4EEvPiPK15HIP_vector_typeIfLj2EES4_i.kd
    .uniform_work_group_size: 1
    .uses_dynamic_stack: false
    .vgpr_count:     21
    .vgpr_spill_count: 0
    .wavefront_size: 64
  - .args:
      - .actual_access:  write_only
        .address_space:  global
        .offset:         0
        .size:           8
        .value_kind:     global_buffer
      - .actual_access:  read_only
        .address_space:  global
        .offset:         8
        .size:           8
        .value_kind:     global_buffer
      - .actual_access:  read_only
        .address_space:  global
        .offset:         16
        .size:           8
        .value_kind:     global_buffer
      - .offset:         24
        .size:           4
        .value_kind:     by_value
    .group_segment_fixed_size: 0
    .kernarg_segment_align: 8
    .kernarg_segment_size: 28
    .language:       OpenCL C
    .language_version:
      - 2
      - 0
    .max_flat_workgroup_size: 1024
    .name:           _Z10pnpoly_optILi8EEvPiPK15HIP_vector_typeIfLj2EES4_i
    .private_segment_fixed_size: 0
    .sgpr_count:     32
    .sgpr_spill_count: 0
    .symbol:         _Z10pnpoly_optILi8EEvPiPK15HIP_vector_typeIfLj2EES4_i.kd
    .uniform_work_group_size: 1
    .uses_dynamic_stack: false
    .vgpr_count:     35
    .vgpr_spill_count: 0
    .wavefront_size: 64
  - .args:
      - .actual_access:  write_only
        .address_space:  global
        .offset:         0
        .size:           8
        .value_kind:     global_buffer
      - .actual_access:  read_only
        .address_space:  global
        .offset:         8
        .size:           8
        .value_kind:     global_buffer
      - .actual_access:  read_only
        .address_space:  global
        .offset:         16
        .size:           8
        .value_kind:     global_buffer
      - .offset:         24
        .size:           4
        .value_kind:     by_value
    .group_segment_fixed_size: 0
    .kernarg_segment_align: 8
    .kernarg_segment_size: 28
    .language:       OpenCL C
    .language_version:
      - 2
      - 0
    .max_flat_workgroup_size: 1024
    .name:           _Z10pnpoly_optILi16EEvPiPK15HIP_vector_typeIfLj2EES4_i
    .private_segment_fixed_size: 0
    .sgpr_count:     50
    .sgpr_spill_count: 0
    .symbol:         _Z10pnpoly_optILi16EEvPiPK15HIP_vector_typeIfLj2EES4_i.kd
    .uniform_work_group_size: 1
    .uses_dynamic_stack: false
    .vgpr_count:     63
    .vgpr_spill_count: 0
    .wavefront_size: 64
  - .args:
      - .actual_access:  write_only
        .address_space:  global
        .offset:         0
        .size:           8
        .value_kind:     global_buffer
      - .actual_access:  read_only
        .address_space:  global
        .offset:         8
        .size:           8
        .value_kind:     global_buffer
      - .actual_access:  read_only
        .address_space:  global
        .offset:         16
        .size:           8
        .value_kind:     global_buffer
      - .offset:         24
        .size:           4
        .value_kind:     by_value
    .group_segment_fixed_size: 0
    .kernarg_segment_align: 8
    .kernarg_segment_size: 28
    .language:       OpenCL C
    .language_version:
      - 2
      - 0
    .max_flat_workgroup_size: 1024
    .name:           _Z10pnpoly_optILi32EEvPiPK15HIP_vector_typeIfLj2EES4_i
    .private_segment_fixed_size: 228
    .sgpr_count:     88
    .sgpr_spill_count: 0
    .symbol:         _Z10pnpoly_optILi32EEvPiPK15HIP_vector_typeIfLj2EES4_i.kd
    .uniform_work_group_size: 1
    .uses_dynamic_stack: false
    .vgpr_count:     64
    .vgpr_spill_count: 94
    .wavefront_size: 64
  - .args:
      - .actual_access:  write_only
        .address_space:  global
        .offset:         0
        .size:           8
        .value_kind:     global_buffer
      - .actual_access:  read_only
        .address_space:  global
        .offset:         8
        .size:           8
        .value_kind:     global_buffer
      - .actual_access:  read_only
        .address_space:  global
        .offset:         16
        .size:           8
        .value_kind:     global_buffer
      - .offset:         24
        .size:           4
        .value_kind:     by_value
    .group_segment_fixed_size: 0
    .kernarg_segment_align: 8
    .kernarg_segment_size: 28
    .language:       OpenCL C
    .language_version:
      - 2
      - 0
    .max_flat_workgroup_size: 1024
    .name:           _Z10pnpoly_optILi64EEvPiPK15HIP_vector_typeIfLj2EES4_i
    .private_segment_fixed_size: 676
    .sgpr_count:     104
    .sgpr_spill_count: 46
    .symbol:         _Z10pnpoly_optILi64EEvPiPK15HIP_vector_typeIfLj2EES4_i.kd
    .uniform_work_group_size: 1
    .uses_dynamic_stack: false
    .vgpr_count:     64
    .vgpr_spill_count: 302
    .wavefront_size: 64
amdhsa.target:   amdgcn-amd-amdhsa--gfx906
amdhsa.version:
  - 1
  - 2
...

	.end_amdgpu_metadata
